;; amdgpu-corpus repo=ROCm/rocFFT kind=compiled arch=gfx950 opt=O3
	.text
	.amdgcn_target "amdgcn-amd-amdhsa--gfx950"
	.amdhsa_code_object_version 6
	.protected	fft_rtc_back_len289_factors_17_17_wgs_119_tpt_17_dp_op_CI_CI_sbrc_z_xy_diag ; -- Begin function fft_rtc_back_len289_factors_17_17_wgs_119_tpt_17_dp_op_CI_CI_sbrc_z_xy_diag
	.globl	fft_rtc_back_len289_factors_17_17_wgs_119_tpt_17_dp_op_CI_CI_sbrc_z_xy_diag
	.p2align	8
	.type	fft_rtc_back_len289_factors_17_17_wgs_119_tpt_17_dp_op_CI_CI_sbrc_z_xy_diag,@function
fft_rtc_back_len289_factors_17_17_wgs_119_tpt_17_dp_op_CI_CI_sbrc_z_xy_diag: ; @fft_rtc_back_len289_factors_17_17_wgs_119_tpt_17_dp_op_CI_CI_sbrc_z_xy_diag
; %bb.0:
	s_load_dwordx8 s[4:11], s[0:1], 0x0
                                        ; kill: killed $sgpr0_sgpr1
	v_mov_b32_e32 v63, 0
	v_add_u32_e32 v30, 0x2ca, v0
	v_mul_u32_u24_e32 v15, 0xe3, v30
	v_lshrrev_b32_e32 v31, 16, v15
	s_waitcnt lgkmcnt(0)
	s_load_dwordx4 s[12:15], s[8:9], 0x8
	s_mov_b32 s28, 0x6ed5f1bb
	s_mov_b32 s36, 0x4363dd80
	;; [unrolled: 1-line block ×4, first 2 shown]
	s_waitcnt lgkmcnt(0)
	s_add_i32 s3, s12, -1
	s_mul_hi_u32 s8, s3, 0x24924925
	s_sub_i32 s3, s3, s8
	s_lshr_b32 s3, s3, 1
	s_add_i32 s3, s3, s8
	s_lshr_b32 s3, s3, 2
	s_add_i32 s3, s3, 1
	s_mul_i32 s3, s3, s14
	v_cvt_f32_u32_e32 v1, s3
	s_load_dwordx2 s[8:9], s[0:1], 0x20
	s_load_dwordx4 s[12:15], s[0:1], 0x58
	s_load_dwordx4 s[20:23], s[10:11], 0x0
	s_sub_i32 s0, 0, s3
	s_waitcnt lgkmcnt(0)
	s_load_dword s23, s[10:11], 0x10
	v_rcp_iflag_f32_e32 v1, v1
	s_load_dwordx4 s[16:19], s[8:9], 0x0
	s_waitcnt lgkmcnt(0)
	s_load_dword s19, s[8:9], 0x10
	s_mov_b32 s40, 0x7c9e640b
	v_mul_f32_e32 v1, 0x4f7ffffe, v1
	v_cvt_u32_f32_e32 v1, v1
	s_mov_b32 s30, 0xeb564b22
	s_mov_b32 s29, 0xbfe348c8
	;; [unrolled: 1-line block ×3, first 2 shown]
	v_readfirstlane_b32 s1, v1
	s_mul_i32 s0, s0, s1
	s_mul_hi_u32 s0, s1, s0
	s_add_i32 s1, s1, s0
	s_mul_hi_u32 s0, s2, s1
	s_mul_i32 s1, s0, s3
	s_sub_i32 s1, s2, s1
	s_add_i32 s24, s0, 1
	s_sub_i32 s25, s1, s3
	s_cmp_ge_u32 s1, s3
	s_cselect_b32 s0, s24, s0
	s_cselect_b32 s1, s25, s1
	s_add_i32 s24, s0, 1
	s_cmp_ge_u32 s1, s3
	s_cselect_b32 s33, s24, s0
	s_mul_i32 s0, s33, s3
	s_sub_i32 s0, s2, s0
	s_mul_hi_u32 s1, s0, 0xf0f0f0f1
	s_lshr_b32 s1, s1, 4
	s_mul_i32 s2, s1, 17
	s_sub_i32 s0, s0, s2
	s_add_i32 s2, s1, s0
	s_mul_hi_u32 s1, s2, 0xe2c4a689
	s_lshr_b32 s26, s1, 8
	s_mulk_i32 s26, 0x121
	s_mul_i32 s0, s0, 7
	s_sub_i32 s64, s2, s26
	s_lshl_b64 s[24:25], s[6:7], 3
	s_mul_i32 s3, s0, s22
	s_mul_i32 s6, s17, s0
	s_mul_hi_u32 s7, s16, s0
	s_mul_i32 s2, s64, s23
	s_add_i32 s1, s7, s6
	s_add_i32 s6, s2, s3
	s_add_u32 s2, s10, s24
	s_addc_u32 s3, s11, s25
	s_load_dwordx2 s[10:11], s[2:3], 0x0
	v_mad_u64_u32 v[2:3], s[2:3], s20, v0, 0
	v_mov_b32_e32 v4, v3
	s_mov_b32 s7, 0
	s_waitcnt lgkmcnt(0)
	s_mul_i32 s2, s11, s33
	s_mul_hi_u32 s3, s10, s33
	s_add_i32 s11, s3, s2
	s_add_u32 s2, s8, s24
	s_addc_u32 s3, s9, s25
	s_load_dwordx2 s[2:3], s[2:3], 0x0
	v_mad_u64_u32 v[4:5], s[8:9], s21, v0, v[4:5]
	s_mul_i32 s10, s10, s33
	v_mov_b32_e32 v3, v4
	s_waitcnt lgkmcnt(0)
	s_mul_i32 s3, s3, s33
	s_mul_hi_u32 s8, s2, s33
	s_add_i32 s3, s8, s3
	s_lshl_b64 s[8:9], s[10:11], 4
	s_add_u32 s10, s12, s8
	s_addc_u32 s11, s13, s9
	s_lshl_b64 s[8:9], s[6:7], 4
	s_add_u32 s8, s10, s8
	s_addc_u32 s9, s11, s9
	v_add_u32_e32 v1, 0x77, v0
	v_lshl_add_u64 v[10:11], v[2:3], 4, s[8:9]
	v_mad_u64_u32 v[2:3], s[10:11], s20, v1, 0
	v_mov_b32_e32 v4, v3
	v_mad_u64_u32 v[4:5], s[10:11], s21, v1, v[4:5]
	v_mov_b32_e32 v3, v4
	v_add_u32_e32 v1, 0xee, v0
	v_lshl_add_u64 v[12:13], v[2:3], 4, s[8:9]
	global_load_dwordx4 v[2:5], v[10:11], off
	global_load_dwordx4 v[6:9], v[12:13], off
	v_mul_u32_u24_e32 v10, 0xe3, v1
	v_lshrrev_b32_e32 v14, 16, v10
	v_mul_lo_u16_e32 v10, 0x121, v14
	v_sub_u16_e32 v1, v1, v10
	v_mad_u64_u32 v[10:11], s[10:11], s20, v1, 0
	v_mov_b32_e32 v12, v11
	v_mad_u64_u32 v[12:13], s[10:11], s21, v1, v[12:13]
	v_mov_b32_e32 v11, v12
	v_mul_lo_u32 v62, s22, v14
	v_lshl_add_u64 v[10:11], v[10:11], 4, s[8:9]
	v_add_u32_e32 v1, 0x165, v0
	v_lshl_add_u64 v[18:19], v[62:63], 4, v[10:11]
	v_add_u32_e32 v10, 0x1dc, v0
	v_add_u32_e32 v11, 0x253, v0
	v_mul_u32_u24_e32 v12, 0xe3, v1
	v_mul_u32_u24_e32 v13, 0xe3, v10
	;; [unrolled: 1-line block ×3, first 2 shown]
	v_lshrrev_b32_e32 v24, 16, v12
	v_lshrrev_b32_e32 v26, 16, v13
	v_lshrrev_b32_e32 v28, 16, v14
	v_mul_lo_u16_e32 v12, 0x121, v24
	v_mul_lo_u16_e32 v13, 0x121, v26
	;; [unrolled: 1-line block ×3, first 2 shown]
	v_sub_u16_e32 v1, v1, v12
	v_sub_u16_e32 v21, v10, v13
	;; [unrolled: 1-line block ×3, first 2 shown]
	v_mad_u64_u32 v[10:11], s[10:11], s20, v1, 0
	v_mad_u64_u32 v[12:13], s[10:11], s20, v21, 0
	v_mov_b32_e32 v16, v11
	v_mad_u64_u32 v[14:15], s[10:11], s20, v23, 0
	v_mov_b32_e32 v20, v13
	v_mad_u64_u32 v[16:17], s[10:11], s21, v1, v[16:17]
	v_mov_b32_e32 v22, v15
	v_mad_u64_u32 v[20:21], s[10:11], s21, v21, v[20:21]
	v_mov_b32_e32 v11, v16
	v_mad_u64_u32 v[22:23], s[10:11], s21, v23, v[22:23]
	v_mov_b32_e32 v13, v20
	v_lshl_add_u64 v[10:11], v[10:11], 4, s[8:9]
	v_mul_lo_u32 v62, s22, v24
	v_mov_b32_e32 v15, v22
	v_lshl_add_u64 v[20:21], v[12:13], 4, s[8:9]
	v_lshl_add_u64 v[24:25], v[62:63], 4, v[10:11]
	v_mul_lo_u32 v62, s22, v26
	v_mul_lo_u16_e32 v1, 0x121, v31
	v_lshl_add_u64 v[22:23], v[14:15], 4, s[8:9]
	v_lshl_add_u64 v[26:27], v[62:63], 4, v[20:21]
	v_mul_lo_u32 v62, s22, v28
	v_sub_u16_e32 v1, v30, v1
	global_load_dwordx4 v[10:13], v[18:19], off
	global_load_dwordx4 v[14:17], v[24:25], off
	v_lshl_add_u64 v[28:29], v[62:63], 4, v[22:23]
	global_load_dwordx4 v[18:21], v[26:27], off
	global_load_dwordx4 v[22:25], v[28:29], off
	v_mad_u64_u32 v[26:27], s[10:11], s20, v1, 0
	v_mov_b32_e32 v28, v27
	v_mad_u64_u32 v[28:29], s[10:11], s21, v1, v[28:29]
	v_mov_b32_e32 v27, v28
	v_mul_lo_u32 v62, s22, v31
	v_lshl_add_u64 v[26:27], v[26:27], 4, s[8:9]
	v_add_u32_e32 v1, 0x341, v0
	v_lshl_add_u64 v[34:35], v[62:63], 4, v[26:27]
	v_mul_u32_u24_e32 v26, 0xe3, v1
	v_lshrrev_b32_e32 v30, 16, v26
	v_mul_lo_u16_e32 v26, 0x121, v30
	v_sub_u16_e32 v1, v1, v26
	v_mad_u64_u32 v[26:27], s[10:11], s20, v1, 0
	v_mov_b32_e32 v28, v27
	v_mad_u64_u32 v[28:29], s[10:11], s21, v1, v[28:29]
	v_mov_b32_e32 v27, v28
	v_mul_lo_u32 v62, s22, v30
	v_lshl_add_u64 v[26:27], v[26:27], 4, s[8:9]
	v_add_u32_e32 v1, 0x3b8, v0
	v_lshl_add_u64 v[36:37], v[62:63], 4, v[26:27]
	global_load_dwordx4 v[26:29], v[34:35], off
	global_load_dwordx4 v[30:33], v[36:37], off
	v_mul_u32_u24_e32 v34, 0x717, v1
	v_lshrrev_b32_e32 v38, 19, v34
	v_mul_lo_u16_e32 v34, 0x121, v38
	v_sub_u16_e32 v1, v1, v34
	v_mad_u64_u32 v[34:35], s[10:11], s20, v1, 0
	v_mov_b32_e32 v36, v35
	v_mad_u64_u32 v[36:37], s[10:11], s21, v1, v[36:37]
	v_mov_b32_e32 v35, v36
	v_mul_lo_u32 v62, s22, v38
	v_lshl_add_u64 v[34:35], v[34:35], 4, s[8:9]
	v_add_u32_e32 v1, 0x42f, v0
	v_lshl_add_u64 v[42:43], v[62:63], 4, v[34:35]
	v_mul_u32_u24_e32 v34, 0x717, v1
	v_lshrrev_b32_e32 v38, 19, v34
	v_mul_lo_u16_e32 v34, 0x121, v38
	v_sub_u16_e32 v1, v1, v34
	v_mad_u64_u32 v[34:35], s[10:11], s20, v1, 0
	v_mov_b32_e32 v36, v35
	v_mad_u64_u32 v[36:37], s[10:11], s21, v1, v[36:37]
	v_mov_b32_e32 v35, v36
	v_mul_lo_u32 v62, s22, v38
	v_lshl_add_u64 v[34:35], v[34:35], 4, s[8:9]
	v_add_u32_e32 v1, 0x4a6, v0
	v_lshl_add_u64 v[44:45], v[62:63], 4, v[34:35]
	global_load_dwordx4 v[34:37], v[42:43], off
	global_load_dwordx4 v[38:41], v[44:45], off
	v_mul_u32_u24_e32 v42, 0x717, v1
	v_lshrrev_b32_e32 v46, 19, v42
	v_mul_lo_u16_e32 v42, 0x121, v46
	v_sub_u16_e32 v1, v1, v42
	;; [unrolled: 26-line block ×4, first 2 shown]
	v_mad_u64_u32 v[58:59], s[10:11], s20, v1, 0
	v_mov_b32_e32 v60, v59
	v_mad_u64_u32 v[60:61], s[10:11], s21, v1, v[60:61]
	v_mov_b32_e32 v59, v60
	v_mul_lo_u32 v62, s22, v62
	v_lshl_add_u64 v[58:59], v[58:59], 4, s[8:9]
	v_add_u32_e32 v1, 0x6f9, v0
	v_lshl_add_u64 v[68:69], v[62:63], 4, v[58:59]
	v_mul_u32_u24_e32 v58, 0x717, v1
	v_lshrrev_b32_e32 v62, 19, v58
	v_mul_lo_u16_e32 v58, 0x121, v62
	v_sub_u16_e32 v1, v1, v58
	v_mad_u64_u32 v[58:59], s[10:11], s20, v1, 0
	v_mov_b32_e32 v60, v59
	v_mad_u64_u32 v[60:61], s[10:11], s21, v1, v[60:61]
	v_mov_b32_e32 v59, v60
	v_mul_lo_u32 v62, s22, v62
	v_lshl_add_u64 v[58:59], v[58:59], 4, s[8:9]
	v_add_u32_e32 v1, 0x770, v0
	v_lshl_add_u64 v[70:71], v[62:63], 4, v[58:59]
	v_mul_u32_u24_e32 v58, 0x717, v1
	v_lshrrev_b32_e32 v62, 19, v58
	v_mul_lo_u16_e32 v58, 0x121, v62
	v_sub_u16_e32 v1, v1, v58
	v_mad_u64_u32 v[72:73], s[10:11], s20, v1, 0
	v_mov_b32_e32 v58, v73
	v_mad_u64_u32 v[58:59], s[10:11], s21, v1, v[58:59]
	v_mov_b32_e32 v73, v58
	global_load_dwordx4 v[58:61], v[68:69], off
	global_load_dwordx4 v[64:67], v[70:71], off
	v_mul_lo_u32 v62, s22, v62
	v_lshl_add_u64 v[68:69], v[72:73], 4, s[8:9]
	v_lshl_add_u64 v[68:69], v[62:63], 4, v[68:69]
	global_load_dwordx4 v[68:71], v[68:69], off
	v_lshl_add_u32 v1, v0, 4, 0
	s_waitcnt vmcnt(16)
	ds_write_b128 v1, v[2:5]
	s_waitcnt vmcnt(15)
	ds_write_b128 v1, v[6:9] offset:1904
	s_waitcnt vmcnt(14)
	ds_write_b128 v1, v[10:13] offset:3808
	v_mul_u32_u24_e32 v2, 0xf10, v0
	v_add_u32_sdwa v3, s0, v2 dst_sel:DWORD dst_unused:UNUSED_PAD src0_sel:DWORD src1_sel:WORD_1
	v_mov_b32_e32 v4, 37
	v_mul_lo_u16_sdwa v4, v3, v4 dst_sel:DWORD dst_unused:UNUSED_PAD src0_sel:BYTE_0 src1_sel:DWORD
	v_sub_u16_sdwa v5, v3, v4 dst_sel:DWORD dst_unused:UNUSED_PAD src0_sel:DWORD src1_sel:BYTE_1
	v_lshrrev_b16_e32 v5, 1, v5
	v_and_b32_e32 v5, 0x7f, v5
	v_add_u16_sdwa v4, v5, v4 dst_sel:DWORD dst_unused:UNUSED_PAD src0_sel:DWORD src1_sel:BYTE_1
	v_lshrrev_b16_e32 v4, 2, v4
	v_mul_lo_u16_e32 v4, 7, v4
	s_movk_i32 s6, 0x121
	s_waitcnt vmcnt(13)
	ds_write_b128 v1, v[14:17] offset:5712
	v_sub_u16_e32 v3, v3, v4
	s_waitcnt vmcnt(12)
	ds_write_b128 v1, v[18:21] offset:7616
	s_waitcnt vmcnt(11)
	ds_write_b128 v1, v[22:25] offset:9520
	;; [unrolled: 2-line block ×13, first 2 shown]
	v_mov_b32_e32 v1, 17
	v_mul_u32_u24_sdwa v3, v3, s6 dst_sel:DWORD dst_unused:UNUSED_PAD src0_sel:BYTE_0 src1_sel:DWORD
	v_mul_lo_u16_sdwa v1, v2, v1 dst_sel:DWORD dst_unused:UNUSED_PAD src0_sel:WORD_1 src1_sel:DWORD
	v_sub_u16_e32 v128, v0, v1
	v_lshlrev_b32_e32 v1, 4, v3
	v_add_u32_e32 v129, 0, v1
	v_lshlrev_b32_e32 v2, 4, v128
	v_add_u32_e32 v62, v129, v2
	s_waitcnt lgkmcnt(0)
	s_barrier
	v_add3_u32 v1, 0, v2, v1
	ds_read_b128 v[6:9], v62
	ds_read_b128 v[64:67], v1 offset:272
	ds_read_b128 v[54:57], v1 offset:544
	;; [unrolled: 1-line block ×11, first 2 shown]
	s_waitcnt lgkmcnt(10)
	v_add_f64 v[2:3], v[6:7], v[64:65]
	v_add_f64 v[4:5], v[8:9], v[66:67]
	s_waitcnt lgkmcnt(9)
	v_add_f64 v[2:3], v[2:3], v[54:55]
	v_add_f64 v[4:5], v[4:5], v[56:57]
	;; [unrolled: 3-line block ×7, first 2 shown]
	ds_read_b128 v[42:45], v1 offset:3264
	ds_read_b128 v[50:53], v1 offset:3536
	;; [unrolled: 1-line block ×3, first 2 shown]
	s_waitcnt lgkmcnt(6)
	v_add_f64 v[2:3], v[2:3], v[10:11]
	v_add_f64 v[4:5], v[4:5], v[12:13]
	s_waitcnt lgkmcnt(5)
	v_add_f64 v[2:3], v[2:3], v[14:15]
	v_add_f64 v[4:5], v[4:5], v[16:17]
	ds_read_b128 v[58:61], v1 offset:3808
	ds_read_b128 v[68:71], v1 offset:4080
	s_waitcnt lgkmcnt(6)
	v_add_f64 v[2:3], v[2:3], v[22:23]
	v_add_f64 v[4:5], v[4:5], v[24:25]
	s_waitcnt lgkmcnt(5)
	v_add_f64 v[2:3], v[2:3], v[30:31]
	v_add_f64 v[4:5], v[4:5], v[32:33]
	s_mov_b32 s26, 0x6c9a05f6
	s_waitcnt lgkmcnt(4)
	v_add_f64 v[2:3], v[2:3], v[42:43]
	v_add_f64 v[4:5], v[4:5], v[44:45]
	s_waitcnt lgkmcnt(2)
	v_add_f64 v[102:103], v[66:67], -v[74:75]
	s_mov_b32 s27, 0xbfe9895b
	v_add_f64 v[2:3], v[2:3], v[50:51]
	v_add_f64 v[4:5], v[4:5], v[52:53]
	;; [unrolled: 1-line block ×4, first 2 shown]
	v_add_f64 v[82:83], v[26:27], -v[30:31]
	s_mov_b32 s20, 0x923c349f
	v_mul_f64 v[30:31], v[102:103], s[26:27]
	s_mov_b32 s38, 0x910ea3b9
	s_mov_b32 s56, 0xacd6c6b4
	s_waitcnt lgkmcnt(1)
	v_add_f64 v[2:3], v[2:3], v[58:59]
	v_add_f64 v[4:5], v[4:5], v[60:61]
	s_mov_b32 s51, 0xbfd71e95
	s_mov_b32 s22, 0x370991
	;; [unrolled: 1-line block ×10, first 2 shown]
	v_fma_f64 v[112:113], s[28:29], v[96:97], v[30:31]
	v_fma_f64 v[114:115], v[96:97], s[28:29], -v[30:31]
	s_mov_b32 s39, 0xbfeb34fa
	v_mul_f64 v[30:31], v[102:103], s[36:37]
	s_mov_b32 s57, 0xbfc7851a
	s_mov_b32 s58, 0x7faef3
	s_waitcnt lgkmcnt(0)
	v_add_f64 v[2:3], v[2:3], v[68:69]
	v_add_f64 v[4:5], v[4:5], v[70:71]
	;; [unrolled: 1-line block ×4, first 2 shown]
	v_add_f64 v[94:95], v[18:19], -v[22:23]
	v_add_f64 v[106:107], v[10:11], v[14:15]
	v_add_f64 v[104:105], v[10:11], -v[14:15]
	s_mov_b32 s23, 0x3fedd6d0
	v_mul_f64 v[10:11], v[102:103], s[50:51]
	s_mov_b32 s13, 0x3fe7a5f6
	v_mul_f64 v[14:15], v[102:103], s[44:45]
	;; [unrolled: 2-line block ×5, first 2 shown]
	v_fma_f64 v[116:117], s[38:39], v[96:97], v[30:31]
	v_fma_f64 v[130:131], v[96:97], s[38:39], -v[30:31]
	v_mul_f64 v[30:31], v[102:103], s[56:57]
	s_mov_b32 s59, 0xbfef7484
	v_add_f64 v[2:3], v[2:3], v[72:73]
	v_add_f64 v[4:5], v[4:5], v[74:75]
	v_add_f64 v[88:89], v[64:65], -v[72:73]
	v_add_f64 v[64:65], v[54:55], v[68:69]
	v_add_f64 v[54:55], v[54:55], -v[68:69]
	;; [unrolled: 2-line block ×8, first 2 shown]
	v_fma_f64 v[12:13], s[22:23], v[96:97], v[10:11]
	v_fma_f64 v[10:11], v[96:97], s[22:23], -v[10:11]
	v_fma_f64 v[16:17], s[12:13], v[96:97], v[14:15]
	v_fma_f64 v[14:15], v[96:97], s[12:13], -v[14:15]
	;; [unrolled: 2-line block ×6, first 2 shown]
	s_mov_b32 s49, 0x3fd71e95
	s_mov_b32 s48, s50
	v_mul_f64 v[30:31], v[90:91], s[22:23]
	s_mov_b32 s47, 0x3fe58eea
	s_mov_b32 s46, s44
	v_mul_f64 v[34:35], v[90:91], s[12:13]
	s_mov_b32 s43, 0x3feca52d
	s_mov_b32 s42, s40
	v_mul_f64 v[38:39], v[90:91], s[10:11]
	s_mov_b32 s35, 0x3fefdd0d
	s_mov_b32 s34, s30
	v_mul_f64 v[42:43], v[90:91], s[8:9]
	s_mov_b32 s53, 0x3feec746
	s_mov_b32 s52, s20
	v_mul_f64 v[96:97], v[90:91], s[24:25]
	s_mov_b32 s55, 0x3fe9895b
	s_mov_b32 s54, s26
	v_mul_f64 v[120:121], v[90:91], s[28:29]
	v_mul_f64 v[138:139], v[90:91], s[58:59]
	s_mov_b32 s63, 0x3fc7851a
	s_mov_b32 s62, s56
	v_add_f64 v[66:67], v[56:57], v[70:71]
	v_add_f64 v[56:57], v[56:57], -v[70:71]
	v_add_f64 v[70:71], v[48:49], v[60:61]
	v_add_f64 v[48:49], v[48:49], -v[60:61]
	;; [unrolled: 2-line block ×4, first 2 shown]
	v_fma_f64 v[32:33], s[48:49], v[88:89], v[30:31]
	v_fmac_f64_e32 v[30:31], s[50:51], v[88:89]
	v_fma_f64 v[36:37], s[46:47], v[88:89], v[34:35]
	v_fmac_f64_e32 v[34:35], s[44:45], v[88:89]
	;; [unrolled: 2-line block ×5, first 2 shown]
	v_fma_f64 v[122:123], s[54:55], v[88:89], v[120:121]
	s_mov_b32 s61, 0x3fe0d888
	s_mov_b32 s60, s36
	v_mul_f64 v[134:135], v[90:91], s[38:39]
	v_fma_f64 v[90:91], s[62:63], v[88:89], v[138:139]
	v_fmac_f64_e32 v[120:121], s[26:27], v[88:89]
	v_fma_f64 v[136:137], s[60:61], v[88:89], v[134:135]
	v_fmac_f64_e32 v[134:135], s[36:37], v[88:89]
	v_fmac_f64_e32 v[138:139], s[56:57], v[88:89]
	v_add_f64 v[12:13], v[6:7], v[12:13]
	v_add_f64 v[140:141], v[8:9], v[32:33]
	v_add_f64 v[142:143], v[6:7], v[10:11]
	v_add_f64 v[144:145], v[8:9], v[30:31]
	v_add_f64 v[16:17], v[6:7], v[16:17]
	v_add_f64 v[146:147], v[8:9], v[36:37]
	v_add_f64 v[14:15], v[6:7], v[14:15]
	v_add_f64 v[148:149], v[8:9], v[34:35]
	v_add_f64 v[150:151], v[6:7], v[20:21]
	v_add_f64 v[152:153], v[8:9], v[40:41]
	v_add_f64 v[154:155], v[6:7], v[18:19]
	v_add_f64 v[156:157], v[8:9], v[38:39]
	v_add_f64 v[36:37], v[6:7], v[24:25]
	v_add_f64 v[34:35], v[8:9], v[44:45]
	v_add_f64 v[32:33], v[6:7], v[22:23]
	v_add_f64 v[30:31], v[8:9], v[42:43]
	v_add_f64 v[44:45], v[6:7], v[28:29]
	v_add_f64 v[42:43], v[8:9], v[118:119]
	v_add_f64 v[40:41], v[6:7], v[26:27]
	v_add_f64 v[38:39], v[8:9], v[96:97]
	v_add_f64 v[126:127], v[6:7], v[112:113]
	v_add_f64 v[124:125], v[8:9], v[122:123]
	v_add_f64 v[122:123], v[6:7], v[114:115]
	v_add_f64 v[118:119], v[6:7], v[116:117]
	v_add_f64 v[114:115], v[6:7], v[130:131]
	v_add_f64 v[102:103], v[6:7], v[102:103]
	v_add_f64 v[96:97], v[8:9], v[90:91]
	v_add_f64 v[90:91], v[6:7], v[132:133]
	v_mul_f64 v[6:7], v[56:57], s[44:45]
	v_add_f64 v[120:121], v[8:9], v[120:121]
	v_add_f64 v[116:117], v[8:9], v[136:137]
	;; [unrolled: 1-line block ×4, first 2 shown]
	v_fma_f64 v[8:9], s[12:13], v[64:65], v[6:7]
	v_mul_f64 v[18:19], v[66:67], s[12:13]
	v_mul_f64 v[20:21], v[48:49], s[40:41]
	v_add_f64 v[8:9], v[8:9], v[12:13]
	v_fma_f64 v[10:11], s[46:47], v[54:55], v[18:19]
	v_fma_f64 v[12:13], s[10:11], v[68:69], v[20:21]
	v_mul_f64 v[22:23], v[70:71], s[10:11]
	v_add_f64 v[10:11], v[10:11], v[140:141]
	v_add_f64 v[8:9], v[12:13], v[8:9]
	v_fma_f64 v[12:13], s[42:43], v[46:47], v[22:23]
	v_mul_f64 v[24:25], v[52:53], s[30:31]
	v_add_f64 v[10:11], v[12:13], v[10:11]
	v_fma_f64 v[12:13], s[8:9], v[58:59], v[24:25]
	v_mul_f64 v[26:27], v[60:61], s[8:9]
	;; [unrolled: 3-line block ×6, first 2 shown]
	v_fmac_f64_e32 v[18:19], s[44:45], v[54:55]
	v_add_f64 v[8:9], v[12:13], v[8:9]
	v_fma_f64 v[12:13], s[54:55], v[82:83], v[134:135]
	v_mul_f64 v[136:137], v[100:101], s[36:37]
	v_fma_f64 v[6:7], v[64:65], s[12:13], -v[6:7]
	v_add_f64 v[18:19], v[18:19], v[144:145]
	v_fmac_f64_e32 v[22:23], s[40:41], v[46:47]
	v_add_f64 v[10:11], v[12:13], v[10:11]
	v_fma_f64 v[12:13], s[38:39], v[92:93], v[136:137]
	v_mul_f64 v[138:139], v[98:99], s[38:39]
	v_add_f64 v[6:7], v[6:7], v[142:143]
	v_fma_f64 v[20:21], v[68:69], s[10:11], -v[20:21]
	v_add_f64 v[18:19], v[22:23], v[18:19]
	v_fmac_f64_e32 v[26:27], s[30:31], v[50:51]
	v_add_f64 v[8:9], v[12:13], v[8:9]
	v_fma_f64 v[12:13], s[60:61], v[94:95], v[138:139]
	v_mul_f64 v[140:141], v[110:111], s[56:57]
	v_add_f64 v[6:7], v[20:21], v[6:7]
	v_fma_f64 v[20:21], v[58:59], s[8:9], -v[24:25]
	v_add_f64 v[18:19], v[26:27], v[18:19]
	v_fmac_f64_e32 v[130:131], s[20:21], v[74:75]
	v_add_f64 v[12:13], v[12:13], v[10:11]
	v_fma_f64 v[10:11], s[58:59], v[106:107], v[140:141]
	v_add_f64 v[6:7], v[20:21], v[6:7]
	v_fma_f64 v[20:21], v[72:73], s[24:25], -v[28:29]
	v_add_f64 v[18:19], v[130:131], v[18:19]
	v_fmac_f64_e32 v[134:135], s[26:27], v[82:83]
	v_add_f64 v[10:11], v[10:11], v[8:9]
	v_mul_f64 v[8:9], v[108:109], s[58:59]
	v_add_f64 v[6:7], v[20:21], v[6:7]
	v_fma_f64 v[20:21], v[80:81], s[28:29], -v[132:133]
	v_add_f64 v[18:19], v[134:135], v[18:19]
	v_fmac_f64_e32 v[138:139], s[36:37], v[94:95]
	v_fma_f64 v[158:159], s[62:63], v[104:105], v[8:9]
	v_add_f64 v[6:7], v[20:21], v[6:7]
	v_fma_f64 v[20:21], v[92:93], s[38:39], -v[136:137]
	v_add_f64 v[18:19], v[138:139], v[18:19]
	v_fmac_f64_e32 v[8:9], s[56:57], v[104:105]
	v_mul_f64 v[22:23], v[56:57], s[30:31]
	v_add_f64 v[6:7], v[20:21], v[6:7]
	v_fma_f64 v[20:21], v[106:107], s[58:59], -v[140:141]
	v_add_f64 v[8:9], v[8:9], v[18:19]
	v_fma_f64 v[18:19], s[8:9], v[64:65], v[22:23]
	v_mul_f64 v[24:25], v[66:67], s[8:9]
	v_mul_f64 v[26:27], v[48:49], s[26:27]
	v_add_f64 v[6:7], v[20:21], v[6:7]
	v_add_f64 v[16:17], v[18:19], v[16:17]
	v_fma_f64 v[18:19], s[34:35], v[54:55], v[24:25]
	v_fma_f64 v[20:21], s[28:29], v[68:69], v[26:27]
	v_mul_f64 v[28:29], v[70:71], s[28:29]
	v_add_f64 v[18:19], v[18:19], v[146:147]
	v_add_f64 v[16:17], v[20:21], v[16:17]
	v_fma_f64 v[20:21], s[54:55], v[46:47], v[28:29]
	v_mul_f64 v[130:131], v[52:53], s[56:57]
	v_add_f64 v[18:19], v[20:21], v[18:19]
	v_fma_f64 v[20:21], s[58:59], v[58:59], v[130:131]
	v_mul_f64 v[132:133], v[60:61], s[58:59]
	;; [unrolled: 3-line block ×6, first 2 shown]
	v_fma_f64 v[22:23], v[64:65], s[8:9], -v[22:23]
	v_fmac_f64_e32 v[24:25], s[30:31], v[54:55]
	v_add_f64 v[16:17], v[20:21], v[16:17]
	v_fma_f64 v[20:21], s[20:21], v[82:83], v[140:141]
	v_mul_f64 v[142:143], v[100:101], s[42:43]
	v_add_f64 v[14:15], v[22:23], v[14:15]
	v_add_f64 v[22:23], v[24:25], v[148:149]
	v_fmac_f64_e32 v[28:29], s[26:27], v[46:47]
	v_add_f64 v[18:19], v[20:21], v[18:19]
	v_fma_f64 v[20:21], s[10:11], v[92:93], v[142:143]
	v_mul_f64 v[144:145], v[98:99], s[10:11]
	v_fma_f64 v[24:25], v[68:69], s[28:29], -v[26:27]
	v_add_f64 v[22:23], v[28:29], v[22:23]
	v_fmac_f64_e32 v[132:133], s[56:57], v[50:51]
	v_add_f64 v[16:17], v[20:21], v[16:17]
	v_fma_f64 v[20:21], s[40:41], v[94:95], v[144:145]
	v_mul_f64 v[146:147], v[110:111], s[48:49]
	v_add_f64 v[14:15], v[24:25], v[14:15]
	v_fma_f64 v[24:25], v[58:59], s[58:59], -v[130:131]
	v_add_f64 v[22:23], v[132:133], v[22:23]
	v_fmac_f64_e32 v[136:137], s[60:61], v[74:75]
	v_add_f64 v[20:21], v[20:21], v[18:19]
	v_fma_f64 v[18:19], s[22:23], v[106:107], v[146:147]
	v_add_f64 v[14:15], v[24:25], v[14:15]
	v_fma_f64 v[24:25], v[72:73], s[38:39], -v[134:135]
	v_add_f64 v[22:23], v[136:137], v[22:23]
	v_fmac_f64_e32 v[140:141], s[52:53], v[82:83]
	v_add_f64 v[18:19], v[18:19], v[16:17]
	v_mul_f64 v[16:17], v[108:109], s[22:23]
	v_add_f64 v[14:15], v[24:25], v[14:15]
	v_fma_f64 v[24:25], v[80:81], s[24:25], -v[138:139]
	v_add_f64 v[22:23], v[140:141], v[22:23]
	v_fmac_f64_e32 v[144:145], s[42:43], v[94:95]
	v_add_f64 v[12:13], v[158:159], v[12:13]
	v_fma_f64 v[158:159], s[50:51], v[104:105], v[16:17]
	v_add_f64 v[14:15], v[24:25], v[14:15]
	v_fma_f64 v[24:25], v[92:93], s[10:11], -v[142:143]
	v_add_f64 v[22:23], v[144:145], v[22:23]
	v_fmac_f64_e32 v[16:17], s[48:49], v[104:105]
	v_add_f64 v[14:15], v[24:25], v[14:15]
	v_fma_f64 v[24:25], v[106:107], s[22:23], -v[146:147]
	v_add_f64 v[16:17], v[16:17], v[22:23]
	v_mul_f64 v[22:23], v[56:57], s[26:27]
	v_add_f64 v[14:15], v[24:25], v[14:15]
	v_fma_f64 v[24:25], s[28:29], v[64:65], v[22:23]
	v_mul_f64 v[130:131], v[66:67], s[28:29]
	v_mul_f64 v[132:133], v[48:49], s[62:63]
	v_add_f64 v[24:25], v[24:25], v[150:151]
	v_fma_f64 v[26:27], s[54:55], v[54:55], v[130:131]
	v_fma_f64 v[28:29], s[58:59], v[68:69], v[132:133]
	v_mul_f64 v[134:135], v[70:71], s[58:59]
	v_add_f64 v[26:27], v[26:27], v[152:153]
	v_add_f64 v[24:25], v[28:29], v[24:25]
	v_fma_f64 v[28:29], s[56:57], v[46:47], v[134:135]
	v_mul_f64 v[136:137], v[52:53], s[52:53]
	v_add_f64 v[26:27], v[28:29], v[26:27]
	v_fma_f64 v[28:29], s[24:25], v[58:59], v[136:137]
	v_mul_f64 v[138:139], v[60:61], s[24:25]
	;; [unrolled: 3-line block ×6, first 2 shown]
	v_fmac_f64_e32 v[130:131], s[26:27], v[54:55]
	v_add_f64 v[24:25], v[28:29], v[24:25]
	v_fma_f64 v[28:29], s[48:49], v[82:83], v[146:147]
	v_mul_f64 v[148:149], v[100:101], s[30:31]
	v_fma_f64 v[22:23], v[64:65], s[28:29], -v[22:23]
	v_add_f64 v[130:131], v[130:131], v[156:157]
	v_fmac_f64_e32 v[134:135], s[62:63], v[46:47]
	v_add_f64 v[26:27], v[28:29], v[26:27]
	v_fma_f64 v[28:29], s[8:9], v[92:93], v[148:149]
	v_mul_f64 v[150:151], v[98:99], s[8:9]
	v_add_f64 v[22:23], v[22:23], v[154:155]
	v_fma_f64 v[132:133], v[68:69], s[58:59], -v[132:133]
	v_add_f64 v[130:131], v[134:135], v[130:131]
	v_fmac_f64_e32 v[138:139], s[52:53], v[50:51]
	v_add_f64 v[24:25], v[28:29], v[24:25]
	v_fma_f64 v[28:29], s[34:35], v[94:95], v[150:151]
	v_mul_f64 v[152:153], v[110:111], s[36:37]
	v_add_f64 v[22:23], v[132:133], v[22:23]
	v_fma_f64 v[132:133], v[58:59], s[24:25], -v[136:137]
	v_add_f64 v[130:131], v[138:139], v[130:131]
	v_fmac_f64_e32 v[142:143], s[46:47], v[74:75]
	v_add_f64 v[28:29], v[28:29], v[26:27]
	v_fma_f64 v[26:27], s[38:39], v[106:107], v[152:153]
	v_add_f64 v[22:23], v[132:133], v[22:23]
	v_fma_f64 v[132:133], v[72:73], s[12:13], -v[140:141]
	v_add_f64 v[130:131], v[142:143], v[130:131]
	v_fmac_f64_e32 v[146:147], s[50:51], v[82:83]
	v_add_f64 v[26:27], v[26:27], v[24:25]
	v_mul_f64 v[24:25], v[108:109], s[38:39]
	v_add_f64 v[22:23], v[132:133], v[22:23]
	v_fma_f64 v[132:133], v[80:81], s[22:23], -v[144:145]
	v_add_f64 v[130:131], v[146:147], v[130:131]
	v_fmac_f64_e32 v[150:151], s[30:31], v[94:95]
	v_add_f64 v[20:21], v[158:159], v[20:21]
	v_fma_f64 v[158:159], s[60:61], v[104:105], v[24:25]
	v_add_f64 v[22:23], v[132:133], v[22:23]
	v_fma_f64 v[132:133], v[92:93], s[8:9], -v[148:149]
	v_add_f64 v[130:131], v[150:151], v[130:131]
	v_fmac_f64_e32 v[24:25], s[36:37], v[104:105]
	v_add_f64 v[22:23], v[132:133], v[22:23]
	v_fma_f64 v[132:133], v[106:107], s[38:39], -v[152:153]
	v_add_f64 v[24:25], v[24:25], v[130:131]
	v_mul_f64 v[130:131], v[56:57], s[56:57]
	v_add_f64 v[22:23], v[132:133], v[22:23]
	v_fma_f64 v[132:133], s[58:59], v[64:65], v[130:131]
	v_add_f64 v[36:37], v[132:133], v[36:37]
	v_mul_f64 v[132:133], v[66:67], s[58:59]
	v_fma_f64 v[134:135], s[62:63], v[54:55], v[132:133]
	v_add_f64 v[34:35], v[134:135], v[34:35]
	v_mul_f64 v[134:135], v[48:49], s[52:53]
	;; [unrolled: 3-line block ×9, first 2 shown]
	v_fma_f64 v[150:151], s[60:61], v[82:83], v[148:149]
	v_fma_f64 v[130:131], v[64:65], s[58:59], -v[130:131]
	v_fmac_f64_e32 v[132:133], s[56:57], v[54:55]
	v_add_f64 v[34:35], v[150:151], v[34:35]
	v_mul_f64 v[150:151], v[100:101], s[54:55]
	v_add_f64 v[32:33], v[130:131], v[32:33]
	v_add_f64 v[30:31], v[132:133], v[30:31]
	v_fma_f64 v[130:131], v[68:69], s[24:25], -v[134:135]
	v_fmac_f64_e32 v[136:137], s[52:53], v[46:47]
	v_fma_f64 v[152:153], s[28:29], v[92:93], v[150:151]
	v_add_f64 v[32:33], v[130:131], v[32:33]
	v_add_f64 v[30:31], v[136:137], v[30:31]
	v_fma_f64 v[130:131], v[58:59], s[22:23], -v[138:139]
	v_fmac_f64_e32 v[140:141], s[48:49], v[50:51]
	v_add_f64 v[36:37], v[152:153], v[36:37]
	v_mul_f64 v[152:153], v[98:99], s[28:29]
	v_add_f64 v[32:33], v[130:131], v[32:33]
	v_add_f64 v[30:31], v[140:141], v[30:31]
	v_fma_f64 v[130:131], v[72:73], s[10:11], -v[142:143]
	v_fmac_f64_e32 v[144:145], s[40:41], v[74:75]
	v_fma_f64 v[154:155], s[26:27], v[94:95], v[152:153]
	v_mul_f64 v[156:157], v[110:111], s[46:47]
	v_add_f64 v[32:33], v[130:131], v[32:33]
	v_add_f64 v[30:31], v[144:145], v[30:31]
	v_fma_f64 v[130:131], v[80:81], s[38:39], -v[146:147]
	v_fmac_f64_e32 v[148:149], s[36:37], v[82:83]
	v_add_f64 v[28:29], v[158:159], v[28:29]
	v_add_f64 v[154:155], v[154:155], v[34:35]
	v_fma_f64 v[34:35], s[12:13], v[106:107], v[156:157]
	v_mul_f64 v[158:159], v[108:109], s[12:13]
	v_add_f64 v[32:33], v[130:131], v[32:33]
	v_add_f64 v[30:31], v[148:149], v[30:31]
	v_fma_f64 v[130:131], v[92:93], s[28:29], -v[150:151]
	v_fmac_f64_e32 v[152:153], s[54:55], v[94:95]
	v_add_f64 v[34:35], v[34:35], v[36:37]
	v_fma_f64 v[36:37], s[44:45], v[104:105], v[158:159]
	v_add_f64 v[32:33], v[130:131], v[32:33]
	v_add_f64 v[130:131], v[152:153], v[30:31]
	v_fma_f64 v[30:31], v[106:107], s[12:13], -v[156:157]
	v_fmac_f64_e32 v[158:159], s[46:47], v[104:105]
	v_add_f64 v[30:31], v[30:31], v[32:33]
	v_add_f64 v[32:33], v[158:159], v[130:131]
	v_mul_f64 v[130:131], v[56:57], s[60:61]
	v_fma_f64 v[132:133], s[38:39], v[64:65], v[130:131]
	v_add_f64 v[44:45], v[132:133], v[44:45]
	v_mul_f64 v[132:133], v[66:67], s[38:39]
	v_fma_f64 v[134:135], s[36:37], v[54:55], v[132:133]
	;; [unrolled: 3-line block ×10, first 2 shown]
	v_fma_f64 v[130:131], v[64:65], s[38:39], -v[130:131]
	v_fmac_f64_e32 v[132:133], s[60:61], v[54:55]
	v_add_f64 v[42:43], v[150:151], v[42:43]
	v_mul_f64 v[150:151], v[100:101], s[50:51]
	v_add_f64 v[40:41], v[130:131], v[40:41]
	v_add_f64 v[38:39], v[132:133], v[38:39]
	v_fma_f64 v[130:131], v[68:69], s[12:13], -v[134:135]
	v_fmac_f64_e32 v[136:137], s[46:47], v[46:47]
	v_fma_f64 v[152:153], s[22:23], v[92:93], v[150:151]
	v_add_f64 v[40:41], v[130:131], v[40:41]
	v_add_f64 v[38:39], v[136:137], v[38:39]
	v_fma_f64 v[130:131], v[58:59], s[10:11], -v[138:139]
	v_fmac_f64_e32 v[140:141], s[40:41], v[50:51]
	v_add_f64 v[44:45], v[152:153], v[44:45]
	v_mul_f64 v[152:153], v[98:99], s[22:23]
	v_add_f64 v[40:41], v[130:131], v[40:41]
	v_add_f64 v[38:39], v[140:141], v[38:39]
	v_fma_f64 v[130:131], v[72:73], s[58:59], -v[142:143]
	v_fmac_f64_e32 v[144:145], s[56:57], v[74:75]
	v_add_f64 v[36:37], v[36:37], v[154:155]
	v_fma_f64 v[154:155], s[48:49], v[94:95], v[152:153]
	v_mul_f64 v[156:157], v[110:111], s[26:27]
	v_add_f64 v[40:41], v[130:131], v[40:41]
	v_add_f64 v[38:39], v[144:145], v[38:39]
	v_fma_f64 v[130:131], v[80:81], s[8:9], -v[146:147]
	v_fmac_f64_e32 v[148:149], s[34:35], v[82:83]
	v_add_f64 v[154:155], v[154:155], v[42:43]
	v_fma_f64 v[42:43], s[28:29], v[106:107], v[156:157]
	;; [unrolled: 7-line block ×3, first 2 shown]
	v_add_f64 v[40:41], v[130:131], v[40:41]
	v_add_f64 v[130:131], v[152:153], v[38:39]
	v_fma_f64 v[38:39], v[106:107], s[28:29], -v[156:157]
	v_fmac_f64_e32 v[158:159], s[26:27], v[104:105]
	v_add_f64 v[38:39], v[38:39], v[40:41]
	v_add_f64 v[40:41], v[158:159], v[130:131]
	v_mul_f64 v[130:131], v[56:57], s[52:53]
	v_fma_f64 v[132:133], s[24:25], v[64:65], v[130:131]
	v_add_f64 v[126:127], v[132:133], v[126:127]
	v_mul_f64 v[132:133], v[66:67], s[24:25]
	v_fma_f64 v[134:135], s[20:21], v[54:55], v[132:133]
	;; [unrolled: 3-line block ×10, first 2 shown]
	v_fma_f64 v[130:131], v[64:65], s[24:25], -v[130:131]
	v_fmac_f64_e32 v[132:133], s[52:53], v[54:55]
	v_add_f64 v[124:125], v[150:151], v[124:125]
	v_mul_f64 v[150:151], v[100:101], s[56:57]
	v_add_f64 v[122:123], v[130:131], v[122:123]
	v_add_f64 v[120:121], v[132:133], v[120:121]
	v_fma_f64 v[130:131], v[68:69], s[22:23], -v[134:135]
	v_fmac_f64_e32 v[136:137], s[50:51], v[46:47]
	v_fma_f64 v[152:153], s[58:59], v[92:93], v[150:151]
	v_add_f64 v[122:123], v[130:131], v[122:123]
	v_add_f64 v[120:121], v[136:137], v[120:121]
	v_fma_f64 v[130:131], v[58:59], s[38:39], -v[138:139]
	v_fmac_f64_e32 v[140:141], s[36:37], v[50:51]
	v_add_f64 v[126:127], v[152:153], v[126:127]
	v_mul_f64 v[152:153], v[98:99], s[58:59]
	v_add_f64 v[122:123], v[130:131], v[122:123]
	v_add_f64 v[120:121], v[140:141], v[120:121]
	v_fma_f64 v[130:131], v[72:73], s[8:9], -v[142:143]
	v_fmac_f64_e32 v[144:145], s[34:35], v[74:75]
	v_add_f64 v[44:45], v[44:45], v[154:155]
	v_fma_f64 v[154:155], s[62:63], v[94:95], v[152:153]
	v_mul_f64 v[156:157], v[110:111], s[42:43]
	v_add_f64 v[122:123], v[130:131], v[122:123]
	v_add_f64 v[120:121], v[144:145], v[120:121]
	v_fma_f64 v[130:131], v[80:81], s[12:13], -v[146:147]
	v_fmac_f64_e32 v[148:149], s[44:45], v[82:83]
	v_add_f64 v[154:155], v[154:155], v[124:125]
	v_fma_f64 v[124:125], s[10:11], v[106:107], v[156:157]
	;; [unrolled: 7-line block ×3, first 2 shown]
	v_add_f64 v[122:123], v[130:131], v[122:123]
	v_add_f64 v[130:131], v[152:153], v[120:121]
	v_fma_f64 v[120:121], v[106:107], s[10:11], -v[156:157]
	v_fmac_f64_e32 v[158:159], s[42:43], v[104:105]
	v_add_f64 v[120:121], v[120:121], v[122:123]
	v_add_f64 v[122:123], v[158:159], v[130:131]
	v_mul_f64 v[130:131], v[56:57], s[42:43]
	v_fma_f64 v[132:133], s[10:11], v[64:65], v[130:131]
	v_add_f64 v[118:119], v[132:133], v[118:119]
	v_mul_f64 v[132:133], v[66:67], s[10:11]
	v_fma_f64 v[134:135], s[40:41], v[54:55], v[132:133]
	;; [unrolled: 3-line block ×10, first 2 shown]
	v_fma_f64 v[130:131], v[64:65], s[10:11], -v[130:131]
	v_fmac_f64_e32 v[132:133], s[42:43], v[54:55]
	v_add_f64 v[116:117], v[150:151], v[116:117]
	v_mul_f64 v[150:151], v[100:101], s[46:47]
	v_add_f64 v[114:115], v[130:131], v[114:115]
	v_add_f64 v[112:113], v[132:133], v[112:113]
	v_fma_f64 v[130:131], v[68:69], s[8:9], -v[134:135]
	v_fmac_f64_e32 v[136:137], s[30:31], v[46:47]
	v_fma_f64 v[152:153], s[12:13], v[92:93], v[150:151]
	v_add_f64 v[114:115], v[130:131], v[114:115]
	v_add_f64 v[112:113], v[136:137], v[112:113]
	v_fma_f64 v[130:131], v[58:59], s[28:29], -v[138:139]
	v_fmac_f64_e32 v[140:141], s[54:55], v[50:51]
	v_add_f64 v[118:119], v[152:153], v[118:119]
	v_mul_f64 v[152:153], v[98:99], s[12:13]
	v_add_f64 v[114:115], v[130:131], v[114:115]
	v_add_f64 v[112:113], v[140:141], v[112:113]
	v_fma_f64 v[130:131], v[72:73], s[22:23], -v[142:143]
	v_fmac_f64_e32 v[144:145], s[50:51], v[74:75]
	v_add_f64 v[126:127], v[126:127], v[154:155]
	v_fma_f64 v[154:155], s[44:45], v[94:95], v[152:153]
	v_mul_f64 v[156:157], v[110:111], s[20:21]
	v_add_f64 v[114:115], v[130:131], v[114:115]
	v_add_f64 v[112:113], v[144:145], v[112:113]
	v_fma_f64 v[130:131], v[80:81], s[58:59], -v[146:147]
	v_fmac_f64_e32 v[148:149], s[56:57], v[82:83]
	v_add_f64 v[154:155], v[154:155], v[116:117]
	v_fma_f64 v[116:117], s[24:25], v[106:107], v[156:157]
	;; [unrolled: 7-line block ×3, first 2 shown]
	v_add_f64 v[114:115], v[130:131], v[114:115]
	v_add_f64 v[130:131], v[152:153], v[112:113]
	v_fma_f64 v[112:113], v[106:107], s[24:25], -v[156:157]
	v_fmac_f64_e32 v[158:159], s[20:21], v[104:105]
	v_mul_f64 v[56:57], v[56:57], s[48:49]
	v_add_f64 v[112:113], v[112:113], v[114:115]
	v_add_f64 v[114:115], v[158:159], v[130:131]
	v_fma_f64 v[130:131], s[22:23], v[64:65], v[56:57]
	v_mul_f64 v[66:67], v[66:67], s[22:23]
	v_add_f64 v[102:103], v[130:131], v[102:103]
	v_fma_f64 v[130:131], s[50:51], v[54:55], v[66:67]
	v_mul_f64 v[48:49], v[48:49], s[36:37]
	;; [unrolled: 3-line block ×5, first 2 shown]
	v_add_f64 v[102:103], v[130:131], v[102:103]
	v_fma_f64 v[130:131], s[44:45], v[50:51], v[60:61]
	v_add_f64 v[96:97], v[130:131], v[96:97]
	v_mul_f64 v[130:131], v[78:79], s[26:27]
	v_fma_f64 v[78:79], s[28:29], v[72:73], v[130:131]
	v_add_f64 v[78:79], v[78:79], v[102:103]
	v_mul_f64 v[102:103], v[76:77], s[28:29]
	v_fma_f64 v[76:77], s[54:55], v[74:75], v[102:103]
	v_mul_f64 v[86:87], v[86:87], s[42:43]
	v_add_f64 v[76:77], v[76:77], v[96:97]
	v_fma_f64 v[96:97], s[10:11], v[80:81], v[86:87]
	v_mul_f64 v[84:85], v[84:85], s[10:11]
	v_fma_f64 v[56:57], v[64:65], s[22:23], -v[56:57]
	v_fmac_f64_e32 v[66:67], s[48:49], v[54:55]
	v_add_f64 v[78:79], v[96:97], v[78:79]
	v_fma_f64 v[96:97], s[40:41], v[82:83], v[84:85]
	v_add_f64 v[56:57], v[56:57], v[90:91]
	v_add_f64 v[54:55], v[66:67], v[88:89]
	v_fma_f64 v[48:49], v[68:69], s[38:39], -v[48:49]
	v_fmac_f64_e32 v[70:71], s[36:37], v[46:47]
	v_add_f64 v[76:77], v[96:97], v[76:77]
	v_mul_f64 v[96:97], v[100:101], s[20:21]
	v_add_f64 v[48:49], v[48:49], v[56:57]
	v_add_f64 v[46:47], v[70:71], v[54:55]
	v_fma_f64 v[52:53], v[58:59], s[12:13], -v[52:53]
	v_fmac_f64_e32 v[60:61], s[46:47], v[50:51]
	v_fma_f64 v[100:101], s[24:25], v[92:93], v[96:97]
	v_mul_f64 v[98:99], v[98:99], s[24:25]
	v_add_f64 v[48:49], v[52:53], v[48:49]
	v_add_f64 v[46:47], v[60:61], v[46:47]
	v_fma_f64 v[50:51], v[72:73], s[28:29], -v[130:131]
	v_fmac_f64_e32 v[102:103], s[26:27], v[74:75]
	v_add_f64 v[78:79], v[100:101], v[78:79]
	v_fma_f64 v[100:101], s[52:53], v[94:95], v[98:99]
	v_mul_f64 v[110:111], v[110:111], s[34:35]
	v_add_f64 v[48:49], v[50:51], v[48:49]
	v_add_f64 v[46:47], v[102:103], v[46:47]
	v_fma_f64 v[50:51], v[80:81], s[10:11], -v[86:87]
	v_fmac_f64_e32 v[84:85], s[42:43], v[82:83]
	v_add_f64 v[100:101], v[100:101], v[76:77]
	;; [unrolled: 7-line block ×3, first 2 shown]
	v_fma_f64 v[78:79], s[30:31], v[104:105], v[108:109]
	v_add_f64 v[48:49], v[50:51], v[48:49]
	v_add_f64 v[50:51], v[98:99], v[46:47]
	v_fma_f64 v[46:47], v[106:107], s[8:9], -v[110:111]
	v_fmac_f64_e32 v[108:109], s[34:35], v[104:105]
	s_movk_i32 s6, 0x110
	v_add_f64 v[46:47], v[46:47], v[48:49]
	v_add_f64 v[48:49], v[108:109], v[50:51]
	v_mad_u32_u24 v50, v128, s6, v129
	v_add_f64 v[118:119], v[118:119], v[154:155]
	v_add_f64 v[78:79], v[78:79], v[100:101]
	s_barrier
	ds_write_b128 v50, v[2:5]
	ds_write_b128 v50, v[10:13] offset:16
	ds_write_b128 v50, v[18:21] offset:32
	;; [unrolled: 1-line block ×16, first 2 shown]
	v_lshlrev_b32_e32 v42, 8, v128
	s_waitcnt lgkmcnt(0)
	s_barrier
	global_load_dwordx4 v[14:17], v42, s[4:5]
	global_load_dwordx4 v[10:13], v42, s[4:5] offset:16
	global_load_dwordx4 v[6:9], v42, s[4:5] offset:32
	;; [unrolled: 1-line block ×15, first 2 shown]
	ds_read_b128 v[50:53], v1 offset:272
	ds_read_b128 v[42:45], v62
	ds_read_b128 v[58:61], v1 offset:544
	s_mul_i32 s2, s2, s33
	s_lshl_b64 s[2:3], s[2:3], 4
	s_mul_i32 s0, s16, s0
	s_add_u32 s2, s14, s2
	s_addc_u32 s3, s15, s3
	s_lshl_b64 s[0:1], s[0:1], 4
	s_mul_i32 s6, s64, s18
	s_add_u32 s2, s2, s0
	s_addc_u32 s3, s3, s1
	s_lshl_b64 s[0:1], s[6:7], 4
	s_add_u32 s0, s2, s0
	s_addc_u32 s1, s3, s1
	s_waitcnt vmcnt(15) lgkmcnt(2)
	v_mul_f64 v[68:69], v[52:53], v[16:17]
	v_mul_f64 v[16:17], v[50:51], v[16:17]
	v_fmac_f64_e32 v[68:69], v[50:51], v[14:15]
	v_fma_f64 v[50:51], v[52:53], v[14:15], -v[16:17]
	ds_read_b128 v[14:17], v1 offset:816
	s_waitcnt vmcnt(14) lgkmcnt(1)
	v_mul_f64 v[52:53], v[60:61], v[12:13]
	v_mul_f64 v[12:13], v[58:59], v[12:13]
	v_fmac_f64_e32 v[52:53], v[58:59], v[10:11]
	v_fma_f64 v[60:61], v[60:61], v[10:11], -v[12:13]
	ds_read_b128 v[10:13], v1 offset:1088
	;; [unrolled: 6-line block ×4, first 2 shown]
	s_waitcnt vmcnt(11) lgkmcnt(1)
	v_mul_f64 v[102:103], v[8:9], v[32:33]
	v_fmac_f64_e32 v[102:103], v[6:7], v[30:31]
	v_mul_f64 v[6:7], v[6:7], v[32:33]
	v_fma_f64 v[106:107], v[8:9], v[30:31], -v[6:7]
	ds_read_b128 v[6:9], v1 offset:1904
	s_waitcnt vmcnt(10) lgkmcnt(1)
	v_mul_f64 v[110:111], v[4:5], v[28:29]
	v_fmac_f64_e32 v[110:111], v[2:3], v[26:27]
	v_mul_f64 v[2:3], v[2:3], v[28:29]
	v_fma_f64 v[114:115], v[4:5], v[26:27], -v[2:3]
	ds_read_b128 v[2:5], v1 offset:2176
	s_waitcnt vmcnt(9) lgkmcnt(1)
	v_mul_f64 v[14:15], v[8:9], v[24:25]
	v_fmac_f64_e32 v[14:15], v[6:7], v[22:23]
	v_mul_f64 v[6:7], v[6:7], v[24:25]
	v_fma_f64 v[16:17], v[8:9], v[22:23], -v[6:7]
	ds_read_b128 v[22:25], v1 offset:2448
	s_waitcnt vmcnt(8) lgkmcnt(1)
	v_mul_f64 v[6:7], v[4:5], v[20:21]
	v_fmac_f64_e32 v[6:7], v[2:3], v[18:19]
	v_mul_f64 v[2:3], v[2:3], v[20:21]
	v_fma_f64 v[8:9], v[4:5], v[18:19], -v[2:3]
	ds_read_b128 v[2:5], v1 offset:2720
	s_waitcnt vmcnt(7) lgkmcnt(1)
	v_mul_f64 v[10:11], v[24:25], v[40:41]
	v_mul_f64 v[12:13], v[22:23], v[40:41]
	v_fmac_f64_e32 v[10:11], v[22:23], v[38:39]
	v_fma_f64 v[12:13], v[24:25], v[38:39], -v[12:13]
	ds_read_b128 v[22:25], v1 offset:2992
	s_waitcnt vmcnt(6) lgkmcnt(1)
	v_mul_f64 v[18:19], v[4:5], v[36:37]
	v_fmac_f64_e32 v[18:19], v[2:3], v[34:35]
	v_mul_f64 v[2:3], v[2:3], v[36:37]
	v_fma_f64 v[20:21], v[4:5], v[34:35], -v[2:3]
	ds_read_b128 v[2:5], v1 offset:3264
	s_waitcnt vmcnt(5) lgkmcnt(1)
	v_mul_f64 v[112:113], v[24:25], v[48:49]
	v_fmac_f64_e32 v[112:113], v[22:23], v[46:47]
	v_mul_f64 v[22:23], v[22:23], v[48:49]
	;; [unrolled: 6-line block ×6, first 2 shown]
	v_fma_f64 v[118:119], v[24:25], v[80:81], -v[22:23]
	s_waitcnt vmcnt(0) lgkmcnt(0)
	v_mul_f64 v[22:23], v[4:5], v[90:91]
	v_fmac_f64_e32 v[22:23], v[2:3], v[88:89]
	v_mul_f64 v[2:3], v[2:3], v[90:91]
	v_fma_f64 v[24:25], v[4:5], v[88:89], -v[2:3]
	v_add_f64 v[4:5], v[44:45], v[50:51]
	v_add_f64 v[4:5], v[4:5], v[60:61]
	;; [unrolled: 1-line block ×31, first 2 shown]
	v_add_f64 v[24:25], v[50:51], -v[24:25]
	v_add_f64 v[2:3], v[2:3], v[58:59]
	v_add_f64 v[26:27], v[68:69], v[22:23]
	v_mul_f64 v[30:31], v[24:25], s[50:51]
	v_mul_f64 v[34:35], v[24:25], s[44:45]
	;; [unrolled: 1-line block ×8, first 2 shown]
	v_add_f64 v[2:3], v[2:3], v[22:23]
	v_add_f64 v[22:23], v[68:69], -v[22:23]
	v_fma_f64 v[40:41], s[10:11], v[26:27], v[38:39]
	v_fma_f64 v[54:55], s[24:25], v[26:27], v[50:51]
	v_fma_f64 v[50:51], v[26:27], s[24:25], -v[50:51]
	v_fma_f64 v[124:125], s[58:59], v[26:27], v[24:25]
	v_fma_f64 v[126:127], v[26:27], s[58:59], -v[24:25]
	v_mul_f64 v[24:25], v[28:29], s[22:23]
	v_mul_f64 v[72:73], v[28:29], s[12:13]
	;; [unrolled: 1-line block ×4, first 2 shown]
	v_fma_f64 v[32:33], s[22:23], v[26:27], v[30:31]
	v_fma_f64 v[30:31], v[26:27], s[22:23], -v[30:31]
	v_fma_f64 v[36:37], s[12:13], v[26:27], v[34:35]
	v_fma_f64 v[34:35], v[26:27], s[12:13], -v[34:35]
	v_fma_f64 v[38:39], v[26:27], s[10:11], -v[38:39]
	v_fma_f64 v[48:49], s[8:9], v[26:27], v[46:47]
	v_fma_f64 v[46:47], v[26:27], s[8:9], -v[46:47]
	v_fma_f64 v[64:65], s[28:29], v[26:27], v[56:57]
	;; [unrolled: 2-line block ×4, first 2 shown]
	v_fmac_f64_e32 v[24:25], s[50:51], v[22:23]
	v_fma_f64 v[74:75], s[46:47], v[22:23], v[72:73]
	v_fma_f64 v[82:83], s[42:43], v[22:23], v[80:81]
	;; [unrolled: 1-line block ×3, first 2 shown]
	v_mul_f64 v[136:137], v[28:29], s[24:25]
	v_mul_f64 v[138:139], v[28:29], s[28:29]
	;; [unrolled: 1-line block ×4, first 2 shown]
	v_add_f64 v[28:29], v[42:43], v[40:41]
	v_add_f64 v[40:41], v[42:43], v[50:51]
	;; [unrolled: 1-line block ×3, first 2 shown]
	v_add_f64 v[52:53], v[52:53], -v[58:59]
	v_add_f64 v[58:59], v[60:61], v[118:119]
	v_add_f64 v[60:61], v[60:61], -v[118:119]
	v_fmac_f64_e32 v[72:73], s[44:45], v[22:23]
	v_fmac_f64_e32 v[80:81], s[40:41], v[22:23]
	;; [unrolled: 1-line block ×3, first 2 shown]
	v_fma_f64 v[96:97], s[52:53], v[22:23], v[136:137]
	v_fmac_f64_e32 v[136:137], s[20:21], v[22:23]
	v_fma_f64 v[140:141], s[54:55], v[22:23], v[138:139]
	v_fmac_f64_e32 v[138:139], s[26:27], v[22:23]
	;; [unrolled: 2-line block ×4, first 2 shown]
	v_add_f64 v[150:151], v[42:43], v[32:33]
	v_add_f64 v[152:153], v[44:45], v[26:27]
	;; [unrolled: 1-line block ×19, first 2 shown]
	v_mul_f64 v[42:43], v[60:61], s[44:45]
	v_add_f64 v[120:121], v[44:45], v[72:73]
	v_add_f64 v[22:23], v[44:45], v[80:81]
	;; [unrolled: 1-line block ×11, first 2 shown]
	v_fma_f64 v[44:45], s[12:13], v[50:51], v[42:43]
	v_add_f64 v[118:119], v[44:45], v[150:151]
	v_mul_f64 v[44:45], v[58:59], s[12:13]
	v_fma_f64 v[68:69], s[46:47], v[52:53], v[44:45]
	v_add_f64 v[124:125], v[68:69], v[152:153]
	v_add_f64 v[68:69], v[70:71], v[76:77]
	v_add_f64 v[70:71], v[70:71], -v[76:77]
	v_add_f64 v[76:77], v[78:79], v[84:85]
	v_add_f64 v[78:79], v[78:79], -v[84:85]
	v_mul_f64 v[144:145], v[78:79], s[40:41]
	v_fma_f64 v[84:85], s[10:11], v[68:69], v[144:145]
	v_mul_f64 v[146:147], v[76:77], s[10:11]
	v_add_f64 v[118:119], v[84:85], v[118:119]
	v_fma_f64 v[84:85], s[42:43], v[70:71], v[146:147]
	v_add_f64 v[124:125], v[84:85], v[124:125]
	v_add_f64 v[84:85], v[86:87], v[92:93]
	v_add_f64 v[86:87], v[86:87], -v[92:93]
	v_add_f64 v[92:93], v[94:95], v[100:101]
	v_add_f64 v[94:95], v[94:95], -v[100:101]
	v_mul_f64 v[148:149], v[94:95], s[30:31]
	v_fma_f64 v[100:101], s[8:9], v[84:85], v[148:149]
	v_mul_f64 v[150:151], v[92:93], s[8:9]
	v_add_f64 v[118:119], v[100:101], v[118:119]
	;; [unrolled: 10-line block ×4, first 2 shown]
	v_fma_f64 v[116:117], s[54:55], v[110:111], v[158:159]
	v_add_f64 v[138:139], v[116:117], v[124:125]
	v_add_f64 v[124:125], v[16:17], v[20:21]
	v_add_f64 v[126:127], v[16:17], -v[20:21]
	v_add_f64 v[116:117], v[14:15], v[18:19]
	v_add_f64 v[118:119], v[14:15], -v[18:19]
	v_mul_f64 v[14:15], v[126:127], s[36:37]
	v_mul_f64 v[18:19], v[124:125], s[38:39]
	v_fma_f64 v[16:17], s[38:39], v[116:117], v[14:15]
	v_fma_f64 v[20:21], s[60:61], v[118:119], v[18:19]
	v_add_f64 v[142:143], v[8:9], -v[12:13]
	v_add_f64 v[16:17], v[16:17], v[136:137]
	v_add_f64 v[20:21], v[20:21], v[138:139]
	;; [unrolled: 1-line block ×3, first 2 shown]
	v_add_f64 v[136:137], v[6:7], -v[10:11]
	v_mul_f64 v[6:7], v[142:143], s[56:57]
	v_add_f64 v[140:141], v[8:9], v[12:13]
	v_fma_f64 v[8:9], s[58:59], v[138:139], v[6:7]
	v_add_f64 v[10:11], v[8:9], v[16:17]
	v_mul_f64 v[8:9], v[140:141], s[58:59]
	v_fma_f64 v[16:17], v[50:51], s[12:13], -v[42:43]
	v_fma_f64 v[12:13], s[62:63], v[136:137], v[8:9]
	v_add_f64 v[16:17], v[16:17], v[134:135]
	v_fmac_f64_e32 v[44:45], s[44:45], v[52:53]
	v_fma_f64 v[42:43], v[68:69], s[10:11], -v[144:145]
	v_add_f64 v[12:13], v[12:13], v[20:21]
	v_add_f64 v[20:21], v[44:45], v[132:133]
	v_add_f64 v[16:17], v[42:43], v[16:17]
	v_fmac_f64_e32 v[146:147], s[40:41], v[70:71]
	v_fma_f64 v[42:43], v[84:85], s[8:9], -v[148:149]
	v_add_f64 v[20:21], v[146:147], v[20:21]
	v_add_f64 v[16:17], v[42:43], v[16:17]
	v_fmac_f64_e32 v[150:151], s[30:31], v[86:87]
	v_fma_f64 v[42:43], v[100:101], s[24:25], -v[152:153]
	v_add_f64 v[20:21], v[150:151], v[20:21]
	v_add_f64 v[16:17], v[42:43], v[16:17]
	;; [unrolled: 4-line block ×5, first 2 shown]
	v_fmac_f64_e32 v[8:9], s[56:57], v[136:137]
	v_mul_f64 v[14:15], v[60:61], s[30:31]
	v_mul_f64 v[42:43], v[58:59], s[8:9]
	v_add_f64 v[8:9], v[8:9], v[16:17]
	v_fma_f64 v[16:17], s[8:9], v[50:51], v[14:15]
	v_fma_f64 v[18:19], s[34:35], v[52:53], v[42:43]
	v_mul_f64 v[44:45], v[78:79], s[26:27]
	v_add_f64 v[16:17], v[16:17], v[130:131]
	v_add_f64 v[18:19], v[18:19], v[128:129]
	v_fma_f64 v[20:21], s[28:29], v[68:69], v[44:45]
	v_mul_f64 v[128:129], v[76:77], s[28:29]
	v_add_f64 v[16:17], v[20:21], v[16:17]
	v_fma_f64 v[20:21], s[54:55], v[70:71], v[128:129]
	v_mul_f64 v[130:131], v[94:95], s[56:57]
	;; [unrolled: 3-line block ×7, first 2 shown]
	v_fmac_f64_e32 v[42:43], s[30:31], v[52:53]
	v_add_f64 v[16:17], v[20:21], v[16:17]
	v_fma_f64 v[20:21], s[20:21], v[110:111], v[148:149]
	v_mul_f64 v[150:151], v[126:127], s[42:43]
	v_fma_f64 v[14:15], v[50:51], s[8:9], -v[14:15]
	v_add_f64 v[42:43], v[42:43], v[120:121]
	v_fmac_f64_e32 v[128:129], s[26:27], v[70:71]
	v_add_f64 v[18:19], v[20:21], v[18:19]
	v_fma_f64 v[20:21], s[10:11], v[116:117], v[150:151]
	v_mul_f64 v[152:153], v[124:125], s[10:11]
	v_add_f64 v[14:15], v[14:15], v[122:123]
	v_fma_f64 v[44:45], v[68:69], s[28:29], -v[44:45]
	v_add_f64 v[42:43], v[128:129], v[42:43]
	v_fmac_f64_e32 v[132:133], s[56:57], v[86:87]
	v_add_f64 v[16:17], v[20:21], v[16:17]
	v_fma_f64 v[20:21], s[40:41], v[118:119], v[152:153]
	v_mul_f64 v[154:155], v[142:143], s[48:49]
	v_add_f64 v[14:15], v[44:45], v[14:15]
	v_fma_f64 v[44:45], v[84:85], s[58:59], -v[130:131]
	v_add_f64 v[42:43], v[132:133], v[42:43]
	v_fmac_f64_e32 v[144:145], s[60:61], v[102:103]
	v_add_f64 v[20:21], v[20:21], v[18:19]
	v_fma_f64 v[18:19], s[22:23], v[138:139], v[154:155]
	v_add_f64 v[14:15], v[44:45], v[14:15]
	v_fma_f64 v[44:45], v[100:101], s[38:39], -v[134:135]
	v_add_f64 v[42:43], v[144:145], v[42:43]
	v_fmac_f64_e32 v[148:149], s[52:53], v[110:111]
	v_add_f64 v[18:19], v[18:19], v[16:17]
	v_mul_f64 v[16:17], v[140:141], s[22:23]
	v_add_f64 v[14:15], v[44:45], v[14:15]
	v_fma_f64 v[44:45], v[108:109], s[24:25], -v[146:147]
	v_add_f64 v[42:43], v[148:149], v[42:43]
	v_fmac_f64_e32 v[152:153], s[42:43], v[118:119]
	v_fma_f64 v[156:157], s[50:51], v[136:137], v[16:17]
	v_add_f64 v[14:15], v[44:45], v[14:15]
	v_fma_f64 v[44:45], v[116:117], s[10:11], -v[150:151]
	v_add_f64 v[42:43], v[152:153], v[42:43]
	v_fmac_f64_e32 v[16:17], s[48:49], v[136:137]
	v_add_f64 v[14:15], v[44:45], v[14:15]
	v_fma_f64 v[44:45], v[138:139], s[22:23], -v[154:155]
	v_add_f64 v[16:17], v[16:17], v[42:43]
	v_mul_f64 v[42:43], v[60:61], s[26:27]
	v_add_f64 v[14:15], v[44:45], v[14:15]
	v_fma_f64 v[44:45], s[28:29], v[50:51], v[42:43]
	v_add_f64 v[28:29], v[44:45], v[28:29]
	v_mul_f64 v[44:45], v[58:59], s[28:29]
	v_fma_f64 v[120:121], s[54:55], v[52:53], v[44:45]
	v_add_f64 v[26:27], v[120:121], v[26:27]
	v_mul_f64 v[120:121], v[78:79], s[62:63]
	;; [unrolled: 3-line block ×9, first 2 shown]
	v_fma_f64 v[148:149], s[48:49], v[110:111], v[146:147]
	v_fma_f64 v[42:43], v[50:51], s[28:29], -v[42:43]
	v_fmac_f64_e32 v[44:45], s[26:27], v[52:53]
	v_add_f64 v[26:27], v[148:149], v[26:27]
	v_mul_f64 v[148:149], v[126:127], s[30:31]
	v_add_f64 v[24:25], v[42:43], v[24:25]
	v_add_f64 v[22:23], v[44:45], v[22:23]
	v_fma_f64 v[42:43], v[68:69], s[58:59], -v[120:121]
	v_fmac_f64_e32 v[122:123], s[62:63], v[70:71]
	v_fma_f64 v[150:151], s[8:9], v[116:117], v[148:149]
	v_add_f64 v[24:25], v[42:43], v[24:25]
	v_add_f64 v[22:23], v[122:123], v[22:23]
	v_fma_f64 v[42:43], v[84:85], s[24:25], -v[128:129]
	v_fmac_f64_e32 v[130:131], s[52:53], v[86:87]
	v_add_f64 v[28:29], v[150:151], v[28:29]
	v_mul_f64 v[150:151], v[124:125], s[8:9]
	v_add_f64 v[24:25], v[42:43], v[24:25]
	v_add_f64 v[22:23], v[130:131], v[22:23]
	v_fma_f64 v[42:43], v[100:101], s[12:13], -v[132:133]
	v_fmac_f64_e32 v[134:135], s[46:47], v[102:103]
	v_fma_f64 v[152:153], s[34:35], v[118:119], v[150:151]
	v_mul_f64 v[154:155], v[142:143], s[36:37]
	v_add_f64 v[24:25], v[42:43], v[24:25]
	v_add_f64 v[22:23], v[134:135], v[22:23]
	v_fma_f64 v[42:43], v[108:109], s[22:23], -v[144:145]
	v_fmac_f64_e32 v[146:147], s[50:51], v[110:111]
	v_add_f64 v[20:21], v[156:157], v[20:21]
	v_add_f64 v[152:153], v[152:153], v[26:27]
	v_fma_f64 v[26:27], s[38:39], v[138:139], v[154:155]
	v_mul_f64 v[156:157], v[140:141], s[38:39]
	v_add_f64 v[24:25], v[42:43], v[24:25]
	v_add_f64 v[22:23], v[146:147], v[22:23]
	v_fma_f64 v[42:43], v[116:117], s[8:9], -v[148:149]
	v_fmac_f64_e32 v[150:151], s[30:31], v[118:119]
	v_add_f64 v[26:27], v[26:27], v[28:29]
	v_fma_f64 v[28:29], s[60:61], v[136:137], v[156:157]
	v_add_f64 v[24:25], v[42:43], v[24:25]
	v_add_f64 v[42:43], v[150:151], v[22:23]
	v_fma_f64 v[22:23], v[138:139], s[38:39], -v[154:155]
	v_fmac_f64_e32 v[156:157], s[36:37], v[136:137]
	v_add_f64 v[22:23], v[22:23], v[24:25]
	v_add_f64 v[24:25], v[156:157], v[42:43]
	v_mul_f64 v[42:43], v[60:61], s[56:57]
	v_fma_f64 v[44:45], s[58:59], v[50:51], v[42:43]
	v_add_f64 v[36:37], v[44:45], v[36:37]
	v_mul_f64 v[44:45], v[58:59], s[58:59]
	v_fma_f64 v[120:121], s[62:63], v[52:53], v[44:45]
	;; [unrolled: 3-line block ×10, first 2 shown]
	v_fma_f64 v[42:43], v[50:51], s[58:59], -v[42:43]
	v_fmac_f64_e32 v[44:45], s[56:57], v[52:53]
	v_add_f64 v[34:35], v[148:149], v[34:35]
	v_mul_f64 v[148:149], v[126:127], s[54:55]
	v_add_f64 v[32:33], v[42:43], v[32:33]
	v_add_f64 v[30:31], v[44:45], v[30:31]
	v_fma_f64 v[42:43], v[68:69], s[24:25], -v[120:121]
	v_fmac_f64_e32 v[122:123], s[52:53], v[70:71]
	v_fma_f64 v[150:151], s[28:29], v[116:117], v[148:149]
	v_add_f64 v[32:33], v[42:43], v[32:33]
	v_add_f64 v[30:31], v[122:123], v[30:31]
	v_fma_f64 v[42:43], v[84:85], s[22:23], -v[128:129]
	v_fmac_f64_e32 v[130:131], s[48:49], v[86:87]
	v_add_f64 v[36:37], v[150:151], v[36:37]
	v_mul_f64 v[150:151], v[124:125], s[28:29]
	v_add_f64 v[32:33], v[42:43], v[32:33]
	v_add_f64 v[30:31], v[130:131], v[30:31]
	v_fma_f64 v[42:43], v[100:101], s[10:11], -v[132:133]
	v_fmac_f64_e32 v[134:135], s[40:41], v[102:103]
	v_add_f64 v[28:29], v[28:29], v[152:153]
	v_fma_f64 v[152:153], s[26:27], v[118:119], v[150:151]
	v_mul_f64 v[154:155], v[142:143], s[46:47]
	v_add_f64 v[32:33], v[42:43], v[32:33]
	v_add_f64 v[30:31], v[134:135], v[30:31]
	v_fma_f64 v[42:43], v[108:109], s[38:39], -v[144:145]
	v_fmac_f64_e32 v[146:147], s[36:37], v[110:111]
	v_add_f64 v[152:153], v[152:153], v[34:35]
	v_fma_f64 v[34:35], s[12:13], v[138:139], v[154:155]
	;; [unrolled: 7-line block ×3, first 2 shown]
	v_add_f64 v[32:33], v[42:43], v[32:33]
	v_add_f64 v[42:43], v[150:151], v[30:31]
	v_fma_f64 v[30:31], v[138:139], s[12:13], -v[154:155]
	v_fmac_f64_e32 v[156:157], s[46:47], v[136:137]
	v_mul_f64 v[120:121], v[60:61], s[60:61]
	v_add_f64 v[30:31], v[30:31], v[32:33]
	v_add_f64 v[32:33], v[156:157], v[42:43]
	v_fma_f64 v[42:43], s[38:39], v[50:51], v[120:121]
	v_add_f64 v[42:43], v[42:43], v[98:99]
	v_mul_f64 v[98:99], v[58:59], s[38:39]
	v_fma_f64 v[44:45], s[36:37], v[52:53], v[98:99]
	v_add_f64 v[44:45], v[44:45], v[96:97]
	v_mul_f64 v[96:97], v[78:79], s[46:47]
	;; [unrolled: 3-line block ×10, first 2 shown]
	v_fma_f64 v[150:151], s[22:23], v[116:117], v[148:149]
	v_fma_f64 v[120:121], v[50:51], s[38:39], -v[120:121]
	v_fmac_f64_e32 v[98:99], s[60:61], v[52:53]
	v_add_f64 v[42:43], v[150:151], v[42:43]
	v_mul_f64 v[150:151], v[124:125], s[22:23]
	v_add_f64 v[40:41], v[120:121], v[40:41]
	v_add_f64 v[38:39], v[98:99], v[38:39]
	v_fma_f64 v[96:97], v[68:69], s[12:13], -v[96:97]
	v_fmac_f64_e32 v[122:123], s[46:47], v[70:71]
	v_add_f64 v[36:37], v[36:37], v[152:153]
	v_fma_f64 v[152:153], s[48:49], v[118:119], v[150:151]
	v_add_f64 v[40:41], v[96:97], v[40:41]
	v_add_f64 v[38:39], v[122:123], v[38:39]
	v_fma_f64 v[96:97], v[84:85], s[10:11], -v[128:129]
	v_fmac_f64_e32 v[130:131], s[40:41], v[86:87]
	v_add_f64 v[44:45], v[152:153], v[44:45]
	v_mul_f64 v[152:153], v[142:143], s[26:27]
	v_add_f64 v[40:41], v[96:97], v[40:41]
	v_add_f64 v[38:39], v[130:131], v[38:39]
	v_fma_f64 v[96:97], v[100:101], s[58:59], -v[132:133]
	v_fmac_f64_e32 v[134:135], s[56:57], v[102:103]
	v_fma_f64 v[154:155], s[28:29], v[138:139], v[152:153]
	v_add_f64 v[40:41], v[96:97], v[40:41]
	v_add_f64 v[38:39], v[134:135], v[38:39]
	v_fma_f64 v[96:97], v[108:109], s[8:9], -v[144:145]
	v_fmac_f64_e32 v[146:147], s[34:35], v[110:111]
	v_add_f64 v[42:43], v[154:155], v[42:43]
	v_mul_f64 v[154:155], v[140:141], s[28:29]
	v_add_f64 v[40:41], v[96:97], v[40:41]
	v_add_f64 v[38:39], v[146:147], v[38:39]
	v_fma_f64 v[96:97], v[116:117], s[22:23], -v[148:149]
	v_fmac_f64_e32 v[150:151], s[50:51], v[118:119]
	v_fma_f64 v[156:157], s[54:55], v[136:137], v[154:155]
	v_add_f64 v[40:41], v[96:97], v[40:41]
	v_add_f64 v[96:97], v[150:151], v[38:39]
	v_fma_f64 v[38:39], v[138:139], s[28:29], -v[152:153]
	v_fmac_f64_e32 v[154:155], s[26:27], v[136:137]
	v_add_f64 v[38:39], v[38:39], v[40:41]
	v_add_f64 v[40:41], v[154:155], v[96:97]
	v_mul_f64 v[96:97], v[60:61], s[52:53]
	v_fma_f64 v[98:99], s[24:25], v[50:51], v[96:97]
	v_add_f64 v[90:91], v[98:99], v[90:91]
	v_mul_f64 v[98:99], v[58:59], s[24:25]
	v_fma_f64 v[120:121], s[20:21], v[52:53], v[98:99]
	;; [unrolled: 3-line block ×10, first 2 shown]
	v_fma_f64 v[96:97], v[50:51], s[24:25], -v[96:97]
	v_fmac_f64_e32 v[98:99], s[52:53], v[52:53]
	v_add_f64 v[88:89], v[148:149], v[88:89]
	v_mul_f64 v[148:149], v[126:127], s[56:57]
	v_add_f64 v[82:83], v[96:97], v[82:83]
	v_add_f64 v[80:81], v[98:99], v[80:81]
	v_fma_f64 v[96:97], v[68:69], s[22:23], -v[120:121]
	v_fmac_f64_e32 v[122:123], s[50:51], v[70:71]
	v_fma_f64 v[150:151], s[58:59], v[116:117], v[148:149]
	v_add_f64 v[82:83], v[96:97], v[82:83]
	v_add_f64 v[80:81], v[122:123], v[80:81]
	v_fma_f64 v[96:97], v[84:85], s[38:39], -v[128:129]
	v_fmac_f64_e32 v[130:131], s[36:37], v[86:87]
	v_add_f64 v[90:91], v[150:151], v[90:91]
	v_mul_f64 v[150:151], v[124:125], s[58:59]
	v_add_f64 v[82:83], v[96:97], v[82:83]
	v_add_f64 v[80:81], v[130:131], v[80:81]
	v_fma_f64 v[96:97], v[100:101], s[8:9], -v[132:133]
	v_fmac_f64_e32 v[134:135], s[34:35], v[102:103]
	v_fma_f64 v[152:153], s[62:63], v[118:119], v[150:151]
	v_mul_f64 v[154:155], v[142:143], s[42:43]
	v_add_f64 v[82:83], v[96:97], v[82:83]
	v_add_f64 v[80:81], v[134:135], v[80:81]
	v_fma_f64 v[96:97], v[108:109], s[12:13], -v[144:145]
	v_fmac_f64_e32 v[146:147], s[44:45], v[110:111]
	v_add_f64 v[44:45], v[156:157], v[44:45]
	v_add_f64 v[152:153], v[152:153], v[88:89]
	v_fma_f64 v[88:89], s[10:11], v[138:139], v[154:155]
	v_mul_f64 v[156:157], v[140:141], s[10:11]
	v_add_f64 v[82:83], v[96:97], v[82:83]
	v_add_f64 v[80:81], v[146:147], v[80:81]
	v_fma_f64 v[96:97], v[116:117], s[58:59], -v[148:149]
	v_fmac_f64_e32 v[150:151], s[56:57], v[118:119]
	v_add_f64 v[88:89], v[88:89], v[90:91]
	v_fma_f64 v[90:91], s[40:41], v[136:137], v[156:157]
	v_add_f64 v[82:83], v[96:97], v[82:83]
	v_add_f64 v[96:97], v[150:151], v[80:81]
	v_fma_f64 v[80:81], v[138:139], s[10:11], -v[154:155]
	v_fmac_f64_e32 v[156:157], s[42:43], v[136:137]
	v_add_f64 v[80:81], v[80:81], v[82:83]
	v_add_f64 v[82:83], v[156:157], v[96:97]
	v_mul_f64 v[96:97], v[60:61], s[42:43]
	v_fma_f64 v[98:99], s[10:11], v[50:51], v[96:97]
	v_add_f64 v[74:75], v[98:99], v[74:75]
	v_mul_f64 v[98:99], v[58:59], s[10:11]
	v_fma_f64 v[120:121], s[40:41], v[52:53], v[98:99]
	;; [unrolled: 3-line block ×10, first 2 shown]
	v_fma_f64 v[96:97], v[50:51], s[10:11], -v[96:97]
	v_fmac_f64_e32 v[98:99], s[42:43], v[52:53]
	v_add_f64 v[72:73], v[148:149], v[72:73]
	v_mul_f64 v[148:149], v[126:127], s[46:47]
	v_add_f64 v[66:67], v[96:97], v[66:67]
	v_add_f64 v[64:65], v[98:99], v[64:65]
	v_fma_f64 v[96:97], v[68:69], s[8:9], -v[120:121]
	v_fmac_f64_e32 v[122:123], s[30:31], v[70:71]
	v_fma_f64 v[150:151], s[12:13], v[116:117], v[148:149]
	v_add_f64 v[66:67], v[96:97], v[66:67]
	v_add_f64 v[64:65], v[122:123], v[64:65]
	v_fma_f64 v[96:97], v[84:85], s[28:29], -v[128:129]
	v_fmac_f64_e32 v[130:131], s[54:55], v[86:87]
	v_add_f64 v[74:75], v[150:151], v[74:75]
	v_mul_f64 v[150:151], v[124:125], s[12:13]
	v_add_f64 v[66:67], v[96:97], v[66:67]
	v_add_f64 v[64:65], v[130:131], v[64:65]
	v_fma_f64 v[96:97], v[100:101], s[22:23], -v[132:133]
	v_fmac_f64_e32 v[134:135], s[50:51], v[102:103]
	v_add_f64 v[90:91], v[90:91], v[152:153]
	v_fma_f64 v[152:153], s[44:45], v[118:119], v[150:151]
	v_mul_f64 v[154:155], v[142:143], s[20:21]
	v_add_f64 v[66:67], v[96:97], v[66:67]
	v_add_f64 v[64:65], v[134:135], v[64:65]
	v_fma_f64 v[96:97], v[108:109], s[58:59], -v[144:145]
	v_fmac_f64_e32 v[146:147], s[56:57], v[110:111]
	v_add_f64 v[152:153], v[152:153], v[72:73]
	v_fma_f64 v[72:73], s[24:25], v[138:139], v[154:155]
	;; [unrolled: 7-line block ×3, first 2 shown]
	v_add_f64 v[66:67], v[96:97], v[66:67]
	v_add_f64 v[96:97], v[150:151], v[64:65]
	v_fma_f64 v[64:65], v[138:139], s[24:25], -v[154:155]
	v_fmac_f64_e32 v[156:157], s[20:21], v[136:137]
	v_mul_f64 v[60:61], v[60:61], s[48:49]
	v_add_f64 v[64:65], v[64:65], v[66:67]
	v_add_f64 v[66:67], v[156:157], v[96:97]
	v_fma_f64 v[96:97], s[22:23], v[50:51], v[60:61]
	v_mul_f64 v[58:59], v[58:59], s[22:23]
	v_add_f64 v[56:57], v[96:97], v[56:57]
	v_fma_f64 v[96:97], s[50:51], v[52:53], v[58:59]
	v_mul_f64 v[78:79], v[78:79], s[36:37]
	;; [unrolled: 3-line block ×5, first 2 shown]
	v_add_f64 v[56:57], v[96:97], v[56:57]
	v_fma_f64 v[96:97], s[44:45], v[86:87], v[92:93]
	v_add_f64 v[54:55], v[96:97], v[54:55]
	v_mul_f64 v[96:97], v[106:107], s[26:27]
	v_fma_f64 v[98:99], s[28:29], v[100:101], v[96:97]
	v_add_f64 v[56:57], v[98:99], v[56:57]
	v_mul_f64 v[98:99], v[104:105], s[28:29]
	;; [unrolled: 3-line block ×4, first 2 shown]
	v_fma_f64 v[112:113], s[40:41], v[110:111], v[106:107]
	v_fma_f64 v[50:51], v[50:51], s[22:23], -v[60:61]
	v_fmac_f64_e32 v[58:59], s[48:49], v[52:53]
	v_add_f64 v[54:55], v[112:113], v[54:55]
	v_mul_f64 v[112:113], v[126:127], s[20:21]
	v_add_f64 v[48:49], v[50:51], v[48:49]
	v_add_f64 v[46:47], v[58:59], v[46:47]
	v_fma_f64 v[50:51], v[68:69], s[38:39], -v[78:79]
	v_fmac_f64_e32 v[76:77], s[36:37], v[70:71]
	v_fma_f64 v[114:115], s[24:25], v[116:117], v[112:113]
	v_add_f64 v[48:49], v[50:51], v[48:49]
	v_add_f64 v[46:47], v[76:77], v[46:47]
	v_fma_f64 v[50:51], v[84:85], s[12:13], -v[94:95]
	v_fmac_f64_e32 v[92:93], s[46:47], v[86:87]
	v_add_f64 v[56:57], v[114:115], v[56:57]
	v_mul_f64 v[114:115], v[124:125], s[24:25]
	v_add_f64 v[48:49], v[50:51], v[48:49]
	v_add_f64 v[46:47], v[92:93], v[46:47]
	v_fma_f64 v[50:51], v[100:101], s[28:29], -v[96:97]
	v_fmac_f64_e32 v[98:99], s[26:27], v[102:103]
	v_fma_f64 v[120:121], s[52:53], v[118:119], v[114:115]
	v_mul_f64 v[122:123], v[142:143], s[34:35]
	v_add_f64 v[48:49], v[50:51], v[48:49]
	v_add_f64 v[46:47], v[98:99], v[46:47]
	v_fma_f64 v[50:51], v[108:109], s[10:11], -v[104:105]
	v_fmac_f64_e32 v[106:107], s[42:43], v[110:111]
	v_add_f64 v[120:121], v[120:121], v[54:55]
	v_fma_f64 v[54:55], s[8:9], v[138:139], v[122:123]
	v_mul_f64 v[124:125], v[140:141], s[8:9]
	v_add_f64 v[48:49], v[50:51], v[48:49]
	v_add_f64 v[46:47], v[106:107], v[46:47]
	v_fma_f64 v[50:51], v[116:117], s[24:25], -v[112:113]
	v_fmac_f64_e32 v[114:115], s[20:21], v[118:119]
	v_add_f64 v[54:55], v[54:55], v[56:57]
	v_fma_f64 v[56:57], s[30:31], v[136:137], v[124:125]
	v_add_f64 v[48:49], v[50:51], v[48:49]
	v_add_f64 v[50:51], v[114:115], v[46:47]
	v_fma_f64 v[46:47], v[138:139], s[8:9], -v[122:123]
	v_fmac_f64_e32 v[124:125], s[34:35], v[136:137]
	v_add_f64 v[74:75], v[74:75], v[152:153]
	v_add_f64 v[56:57], v[56:57], v[120:121]
	;; [unrolled: 1-line block ×4, first 2 shown]
	s_barrier
	ds_write_b128 v1, v[2:5]
	ds_write_b128 v1, v[10:13] offset:272
	ds_write_b128 v1, v[18:21] offset:544
	ds_write_b128 v1, v[26:29] offset:816
	ds_write_b128 v1, v[34:37] offset:1088
	ds_write_b128 v1, v[42:45] offset:1360
	ds_write_b128 v1, v[88:91] offset:1632
	ds_write_b128 v1, v[72:75] offset:1904
	ds_write_b128 v1, v[54:57] offset:2176
	ds_write_b128 v1, v[46:49] offset:2448
	ds_write_b128 v1, v[64:67] offset:2720
	ds_write_b128 v1, v[80:83] offset:2992
	ds_write_b128 v1, v[38:41] offset:3264
	ds_write_b128 v1, v[30:33] offset:3536
	ds_write_b128 v1, v[22:25] offset:3808
	ds_write_b128 v1, v[14:17] offset:4080
	ds_write_b128 v1, v[6:9] offset:4352
	v_mul_u32_u24_e32 v1, 0x2493, v0
	v_lshrrev_b32_e32 v2, 16, v1
	v_mul_lo_u16_e32 v1, 7, v2
	v_sub_u16_e32 v3, v0, v1
	v_mad_u64_u32 v[4:5], s[4:5], s16, v3, 0
	v_mov_b32_e32 v0, v5
	v_mad_u64_u32 v[0:1], s[4:5], s17, v3, v[0:1]
	v_mov_b32_e32 v5, v0
	v_mul_lo_u16_e32 v0, 0x121, v3
	v_lshlrev_b32_e32 v6, 4, v0
	v_lshlrev_b32_e32 v7, 4, v2
	v_add3_u32 v0, 0, v6, v7
	s_waitcnt lgkmcnt(0)
	s_barrier
	v_mul_lo_u32 v62, s19, v2
	ds_read_b128 v[0:3], v0
	v_lshl_add_u64 v[8:9], v[4:5], 4, s[0:1]
	v_add3_u32 v12, 0, v7, v6
	ds_read_b128 v[4:7], v12 offset:272
	v_lshl_add_u64 v[10:11], v[62:63], 4, v[8:9]
	s_waitcnt lgkmcnt(1)
	global_store_dwordx4 v[10:11], v[0:3], off
	ds_read_b128 v[0:3], v12 offset:544
	s_mul_i32 s19, s19, 17
	v_add_u32_e32 v62, s19, v62
	v_lshl_add_u64 v[10:11], v[62:63], 4, v[8:9]
	v_add_u32_e32 v62, s19, v62
	s_waitcnt lgkmcnt(1)
	global_store_dwordx4 v[10:11], v[4:7], off
	ds_read_b128 v[4:7], v12 offset:816
	v_lshl_add_u64 v[10:11], v[62:63], 4, v[8:9]
	s_waitcnt lgkmcnt(1)
	global_store_dwordx4 v[10:11], v[0:3], off
	ds_read_b128 v[0:3], v12 offset:1088
	v_add_u32_e32 v62, s19, v62
	v_lshl_add_u64 v[10:11], v[62:63], 4, v[8:9]
	v_add_u32_e32 v62, s19, v62
	s_waitcnt lgkmcnt(1)
	global_store_dwordx4 v[10:11], v[4:7], off
	ds_read_b128 v[4:7], v12 offset:1360
	v_lshl_add_u64 v[10:11], v[62:63], 4, v[8:9]
	s_waitcnt lgkmcnt(1)
	global_store_dwordx4 v[10:11], v[0:3], off
	ds_read_b128 v[0:3], v12 offset:1632
	;; [unrolled: 10-line block ×7, first 2 shown]
	v_add_u32_e32 v62, s19, v62
	v_lshl_add_u64 v[10:11], v[62:63], 4, v[8:9]
	v_add_u32_e32 v62, s19, v62
	s_waitcnt lgkmcnt(1)
	global_store_dwordx4 v[10:11], v[4:7], off
	s_nop 1
	v_lshl_add_u64 v[4:5], v[62:63], 4, v[8:9]
	s_waitcnt lgkmcnt(0)
	global_store_dwordx4 v[4:5], v[0:3], off
	s_endpgm
	.section	.rodata,"a",@progbits
	.p2align	6, 0x0
	.amdhsa_kernel fft_rtc_back_len289_factors_17_17_wgs_119_tpt_17_dp_op_CI_CI_sbrc_z_xy_diag
		.amdhsa_group_segment_fixed_size 0
		.amdhsa_private_segment_fixed_size 0
		.amdhsa_kernarg_size 104
		.amdhsa_user_sgpr_count 2
		.amdhsa_user_sgpr_dispatch_ptr 0
		.amdhsa_user_sgpr_queue_ptr 0
		.amdhsa_user_sgpr_kernarg_segment_ptr 1
		.amdhsa_user_sgpr_dispatch_id 0
		.amdhsa_user_sgpr_kernarg_preload_length 0
		.amdhsa_user_sgpr_kernarg_preload_offset 0
		.amdhsa_user_sgpr_private_segment_size 0
		.amdhsa_uses_dynamic_stack 0
		.amdhsa_enable_private_segment 0
		.amdhsa_system_sgpr_workgroup_id_x 1
		.amdhsa_system_sgpr_workgroup_id_y 0
		.amdhsa_system_sgpr_workgroup_id_z 0
		.amdhsa_system_sgpr_workgroup_info 0
		.amdhsa_system_vgpr_workitem_id 0
		.amdhsa_next_free_vgpr 160
		.amdhsa_next_free_sgpr 65
		.amdhsa_accum_offset 160
		.amdhsa_reserve_vcc 0
		.amdhsa_float_round_mode_32 0
		.amdhsa_float_round_mode_16_64 0
		.amdhsa_float_denorm_mode_32 3
		.amdhsa_float_denorm_mode_16_64 3
		.amdhsa_dx10_clamp 1
		.amdhsa_ieee_mode 1
		.amdhsa_fp16_overflow 0
		.amdhsa_tg_split 0
		.amdhsa_exception_fp_ieee_invalid_op 0
		.amdhsa_exception_fp_denorm_src 0
		.amdhsa_exception_fp_ieee_div_zero 0
		.amdhsa_exception_fp_ieee_overflow 0
		.amdhsa_exception_fp_ieee_underflow 0
		.amdhsa_exception_fp_ieee_inexact 0
		.amdhsa_exception_int_div_zero 0
	.end_amdhsa_kernel
	.text
.Lfunc_end0:
	.size	fft_rtc_back_len289_factors_17_17_wgs_119_tpt_17_dp_op_CI_CI_sbrc_z_xy_diag, .Lfunc_end0-fft_rtc_back_len289_factors_17_17_wgs_119_tpt_17_dp_op_CI_CI_sbrc_z_xy_diag
                                        ; -- End function
	.section	.AMDGPU.csdata,"",@progbits
; Kernel info:
; codeLenInByte = 15212
; NumSgprs: 71
; NumVgprs: 160
; NumAgprs: 0
; TotalNumVgprs: 160
; ScratchSize: 0
; MemoryBound: 0
; FloatMode: 240
; IeeeMode: 1
; LDSByteSize: 0 bytes/workgroup (compile time only)
; SGPRBlocks: 8
; VGPRBlocks: 19
; NumSGPRsForWavesPerEU: 71
; NumVGPRsForWavesPerEU: 160
; AccumOffset: 160
; Occupancy: 3
; WaveLimiterHint : 1
; COMPUTE_PGM_RSRC2:SCRATCH_EN: 0
; COMPUTE_PGM_RSRC2:USER_SGPR: 2
; COMPUTE_PGM_RSRC2:TRAP_HANDLER: 0
; COMPUTE_PGM_RSRC2:TGID_X_EN: 1
; COMPUTE_PGM_RSRC2:TGID_Y_EN: 0
; COMPUTE_PGM_RSRC2:TGID_Z_EN: 0
; COMPUTE_PGM_RSRC2:TIDIG_COMP_CNT: 0
; COMPUTE_PGM_RSRC3_GFX90A:ACCUM_OFFSET: 39
; COMPUTE_PGM_RSRC3_GFX90A:TG_SPLIT: 0
	.text
	.p2alignl 6, 3212836864
	.fill 256, 4, 3212836864
	.type	__hip_cuid_1bd90effda45102a,@object ; @__hip_cuid_1bd90effda45102a
	.section	.bss,"aw",@nobits
	.globl	__hip_cuid_1bd90effda45102a
__hip_cuid_1bd90effda45102a:
	.byte	0                               ; 0x0
	.size	__hip_cuid_1bd90effda45102a, 1

	.ident	"AMD clang version 19.0.0git (https://github.com/RadeonOpenCompute/llvm-project roc-6.4.0 25133 c7fe45cf4b819c5991fe208aaa96edf142730f1d)"
	.section	".note.GNU-stack","",@progbits
	.addrsig
	.addrsig_sym __hip_cuid_1bd90effda45102a
	.amdgpu_metadata
---
amdhsa.kernels:
  - .agpr_count:     0
    .args:
      - .actual_access:  read_only
        .address_space:  global
        .offset:         0
        .size:           8
        .value_kind:     global_buffer
      - .offset:         8
        .size:           8
        .value_kind:     by_value
      - .actual_access:  read_only
        .address_space:  global
        .offset:         16
        .size:           8
        .value_kind:     global_buffer
      - .actual_access:  read_only
        .address_space:  global
        .offset:         24
        .size:           8
        .value_kind:     global_buffer
      - .actual_access:  read_only
        .address_space:  global
        .offset:         32
        .size:           8
        .value_kind:     global_buffer
      - .offset:         40
        .size:           8
        .value_kind:     by_value
      - .actual_access:  read_only
        .address_space:  global
        .offset:         48
        .size:           8
        .value_kind:     global_buffer
      - .actual_access:  read_only
        .address_space:  global
        .offset:         56
        .size:           8
        .value_kind:     global_buffer
      - .offset:         64
        .size:           4
        .value_kind:     by_value
      - .actual_access:  read_only
        .address_space:  global
        .offset:         72
        .size:           8
        .value_kind:     global_buffer
      - .actual_access:  read_only
        .address_space:  global
        .offset:         80
        .size:           8
        .value_kind:     global_buffer
      - .actual_access:  read_only
        .address_space:  global
        .offset:         88
        .size:           8
        .value_kind:     global_buffer
      - .actual_access:  write_only
        .address_space:  global
        .offset:         96
        .size:           8
        .value_kind:     global_buffer
    .group_segment_fixed_size: 0
    .kernarg_segment_align: 8
    .kernarg_segment_size: 104
    .language:       OpenCL C
    .language_version:
      - 2
      - 0
    .max_flat_workgroup_size: 119
    .name:           fft_rtc_back_len289_factors_17_17_wgs_119_tpt_17_dp_op_CI_CI_sbrc_z_xy_diag
    .private_segment_fixed_size: 0
    .sgpr_count:     71
    .sgpr_spill_count: 0
    .symbol:         fft_rtc_back_len289_factors_17_17_wgs_119_tpt_17_dp_op_CI_CI_sbrc_z_xy_diag.kd
    .uniform_work_group_size: 1
    .uses_dynamic_stack: false
    .vgpr_count:     160
    .vgpr_spill_count: 0
    .wavefront_size: 64
amdhsa.target:   amdgcn-amd-amdhsa--gfx950
amdhsa.version:
  - 1
  - 2
...

	.end_amdgpu_metadata
